;; amdgpu-corpus repo=ROCm/rocSOLVER kind=compiled arch=gfx950 opt=O3
	.amdgcn_target "amdgcn-amd-amdhsa--gfx950"
	.amdhsa_code_object_version 6
	.section	.text._ZN9rocsolver6v33100L22larf_left_kernel_smallILi64EdiPdEEvT1_S3_T2_lS3_lPKT0_lS4_lS3_l,"axG",@progbits,_ZN9rocsolver6v33100L22larf_left_kernel_smallILi64EdiPdEEvT1_S3_T2_lS3_lPKT0_lS4_lS3_l,comdat
	.globl	_ZN9rocsolver6v33100L22larf_left_kernel_smallILi64EdiPdEEvT1_S3_T2_lS3_lPKT0_lS4_lS3_l ; -- Begin function _ZN9rocsolver6v33100L22larf_left_kernel_smallILi64EdiPdEEvT1_S3_T2_lS3_lPKT0_lS4_lS3_l
	.p2align	8
	.type	_ZN9rocsolver6v33100L22larf_left_kernel_smallILi64EdiPdEEvT1_S3_T2_lS3_lPKT0_lS4_lS3_l,@function
_ZN9rocsolver6v33100L22larf_left_kernel_smallILi64EdiPdEEvT1_S3_T2_lS3_lPKT0_lS4_lS3_l: ; @_ZN9rocsolver6v33100L22larf_left_kernel_smallILi64EdiPdEEvT1_S3_T2_lS3_lPKT0_lS4_lS3_l
; %bb.0:
	s_load_dwordx2 s[6:7], s[0:1], 0x0
	s_load_dwordx8 s[8:15], s[0:1], 0x20
	s_load_dwordx2 s[16:17], s[0:1], 0x40
	s_ashr_i32 s22, s2, 31
	v_lshlrev_b32_e32 v2, 3, v0
	s_waitcnt lgkmcnt(0)
	v_cmp_gt_i32_e64 s[4:5], s6, v0
	s_and_saveexec_b64 s[18:19], s[4:5]
	s_cbranch_execz .LBB0_3
; %bb.1:
	s_load_dwordx4 s[24:27], s[0:1], 0x8
	s_load_dword s20, s[0:1], 0x18
	s_mul_i32 s21, s8, s22
	s_mul_hi_u32 s23, s8, s2
	s_add_i32 s21, s23, s21
	s_mul_i32 s9, s9, s2
	s_add_i32 s9, s21, s9
	s_mul_i32 s8, s8, s2
	s_lshl_b64 s[8:9], s[8:9], 3
	s_waitcnt lgkmcnt(0)
	s_add_u32 s21, s24, s8
	s_addc_u32 s23, s25, s9
	s_lshl_b64 s[8:9], s[26:27], 3
	s_add_u32 s8, s21, s8
	s_addc_u32 s9, s23, s9
	s_sub_i32 s21, 1, s6
	s_mul_i32 s21, s20, s21
	s_cmp_lt_i32 s20, 1
	s_cselect_b32 s21, s21, 0
	v_mul_lo_u32 v1, v0, s20
	v_add_u32_e32 v4, s21, v1
	s_lshl_b32 s23, s20, 6
	v_lshlrev_b32_e32 v1, 3, v0
	s_mov_b64 s[20:21], 0
	v_mov_b32_e32 v3, v0
.LBB0_2:                                ; =>This Inner Loop Header: Depth=1
	v_ashrrev_i32_e32 v5, 31, v4
	v_lshl_add_u64 v[6:7], v[4:5], 3, s[8:9]
	global_load_dwordx2 v[6:7], v[6:7], off
	v_add_u32_e32 v3, 64, v3
	v_cmp_le_i32_e32 vcc, s6, v3
	v_add_u32_e32 v4, s23, v4
	s_or_b64 s[20:21], vcc, s[20:21]
	s_waitcnt vmcnt(0)
	ds_write_b64 v1, v[6:7]
	v_add_u32_e32 v1, 0x200, v1
	s_andn2_b64 exec, exec, s[20:21]
	s_cbranch_execnz .LBB0_2
.LBB0_3:
	s_or_b64 exec, exec, s[18:19]
	s_cmp_ge_i32 s3, s7
	s_waitcnt lgkmcnt(0)
	; wave barrier
	s_cbranch_scc1 .LBB0_21
; %bb.4:
	s_load_dword s20, s[0:1], 0x48
	s_load_dwordx2 s[18:19], s[0:1], 0x50
	s_mul_i32 s0, s12, s22
	s_mul_hi_u32 s1, s12, s2
	s_add_i32 s0, s1, s0
	s_mul_i32 s1, s13, s2
	s_add_i32 s1, s0, s1
	s_mul_i32 s0, s12, s2
	s_lshl_b64 s[0:1], s[0:1], 3
	s_add_u32 s0, s10, s0
	s_addc_u32 s1, s11, s1
	s_cmp_gt_i32 s6, 1
	s_waitcnt lgkmcnt(0)
	s_mul_i32 s12, s18, s22
	s_mul_hi_u32 s13, s18, s2
	s_cselect_b64 s[8:9], -1, 0
	s_add_i32 s12, s13, s12
	s_mul_i32 s13, s19, s2
	s_add_i32 s13, s12, s13
	s_mul_i32 s12, s18, s2
	s_lshl_b64 s[12:13], s[12:13], 3
	s_lshl_b64 s[16:17], s[16:17], 3
	s_add_u32 s2, s12, s16
	s_addc_u32 s13, s13, s17
	s_add_u32 s12, s14, s2
	v_mbcnt_lo_u32_b32 v6, -1, 0
	v_mov_b32_e32 v3, 0
	s_addc_u32 s13, s15, s13
	v_mbcnt_hi_u32_b32 v12, -1, v6
	v_mov_b32_e32 v6, 0x80
	v_cmp_eq_u32_e64 s[10:11], 0, v0
	v_lshrrev_b32_e32 v1, 3, v0
	v_lshl_add_u64 v[4:5], s[12:13], 0, v[2:3]
	s_mul_i32 s12, s3, s20
	s_lshl_b32 s2, s20, 6
	s_mov_b64 s[14:15], 0x200
	v_and_b32_e32 v13, 63, v12
	v_lshl_or_b32 v14, v12, 2, v6
	s_branch .LBB0_6
.LBB0_5:                                ;   in Loop: Header=BB0_6 Depth=1
	s_or_b64 exec, exec, s[16:17]
	s_add_i32 s3, s3, 64
	s_add_i32 s12, s12, s2
	s_cmp_ge_i32 s3, s7
	s_cbranch_scc1 .LBB0_21
.LBB0_6:                                ; =>This Loop Header: Depth=1
                                        ;     Child Loop BB0_8 Depth 2
                                        ;     Child Loop BB0_20 Depth 2
	s_ashr_i32 s13, s12, 31
	v_lshl_add_u64 v[6:7], s[12:13], 3, v[4:5]
	v_mov_b64_e32 v[8:9], 0
	s_and_saveexec_b64 s[16:17], s[4:5]
	s_cbranch_execz .LBB0_10
; %bb.7:                                ;   in Loop: Header=BB0_6 Depth=1
	v_mov_b64_e32 v[8:9], 0
	s_mov_b64 s[18:19], 0
	v_mov_b64_e32 v[10:11], v[6:7]
	v_mov_b32_e32 v15, v2
	v_mov_b32_e32 v16, v0
.LBB0_8:                                ;   Parent Loop BB0_6 Depth=1
                                        ; =>  This Inner Loop Header: Depth=2
	global_load_dwordx2 v[18:19], v[10:11], off
	ds_read_b64 v[20:21], v15
	v_add_u32_e32 v16, 64, v16
	v_cmp_le_i32_e32 vcc, s6, v16
	v_add_u32_e32 v15, 0x200, v15
	v_lshl_add_u64 v[10:11], v[10:11], 0, s[14:15]
	s_or_b64 s[18:19], vcc, s[18:19]
	s_waitcnt vmcnt(0) lgkmcnt(0)
	v_fmac_f64_e32 v[8:9], v[20:21], v[18:19]
	s_andn2_b64 exec, exec, s[18:19]
	s_cbranch_execnz .LBB0_8
; %bb.9:                                ;   in Loop: Header=BB0_6 Depth=1
	s_or_b64 exec, exec, s[18:19]
.LBB0_10:                               ;   in Loop: Header=BB0_6 Depth=1
	s_or_b64 exec, exec, s[16:17]
	s_and_b64 vcc, exec, s[8:9]
	s_cbranch_vccz .LBB0_15
; %bb.11:                               ;   in Loop: Header=BB0_6 Depth=1
	v_cmp_ne_u32_e32 vcc, 63, v13
	s_nop 1
	v_addc_co_u32_e32 v10, vcc, 0, v12, vcc
	v_lshlrev_b32_e32 v11, 2, v10
	ds_bpermute_b32 v10, v11, v8
	ds_bpermute_b32 v11, v11, v9
	v_cmp_gt_u32_e32 vcc, 62, v13
	s_waitcnt lgkmcnt(0)
	v_add_f64 v[10:11], v[8:9], v[10:11]
	v_cndmask_b32_e64 v15, 0, 2, vcc
	v_add_lshl_u32 v15, v15, v12, 2
	ds_bpermute_b32 v16, v15, v10
	ds_bpermute_b32 v17, v15, v11
	v_cmp_gt_u32_e32 vcc, 60, v13
	s_waitcnt lgkmcnt(0)
	v_add_f64 v[10:11], v[10:11], v[16:17]
	v_cndmask_b32_e64 v15, 0, 4, vcc
	v_add_lshl_u32 v15, v15, v12, 2
	;; [unrolled: 7-line block ×4, first 2 shown]
	ds_bpermute_b32 v16, v15, v10
	ds_bpermute_b32 v17, v15, v11
	s_waitcnt lgkmcnt(0)
	v_add_f64 v[10:11], v[10:11], v[16:17]
	ds_bpermute_b32 v16, v14, v10
	ds_bpermute_b32 v17, v14, v11
	s_waitcnt lgkmcnt(0)
	v_add_f64 v[10:11], v[10:11], v[16:17]
	s_and_saveexec_b64 s[16:17], s[10:11]
; %bb.12:                               ;   in Loop: Header=BB0_6 Depth=1
	ds_write_b64 v1, v[10:11] offset:16384
; %bb.13:                               ;   in Loop: Header=BB0_6 Depth=1
	s_or_b64 exec, exec, s[16:17]
	s_waitcnt lgkmcnt(0)
	; wave barrier
	s_mov_b64 s[16:17], s[10:11]
.LBB0_14:                               ;   in Loop: Header=BB0_6 Depth=1
	v_mov_b64_e32 v[8:9], v[10:11]
	s_and_saveexec_b64 s[18:19], s[16:17]
	s_cbranch_execnz .LBB0_17
	s_branch .LBB0_18
.LBB0_15:                               ;   in Loop: Header=BB0_6 Depth=1
	s_mov_b64 s[16:17], 0
                                        ; implicit-def: $vgpr10_vgpr11
	s_cbranch_execz .LBB0_14
; %bb.16:                               ;   in Loop: Header=BB0_6 Depth=1
	s_andn2_b64 s[16:17], s[16:17], exec
	s_and_b64 s[18:19], s[10:11], exec
	s_or_b64 s[16:17], s[16:17], s[18:19]
	s_and_saveexec_b64 s[18:19], s[16:17]
.LBB0_17:                               ;   in Loop: Header=BB0_6 Depth=1
	ds_write_b64 v3, v[8:9] offset:16384
.LBB0_18:                               ;   in Loop: Header=BB0_6 Depth=1
	s_or_b64 exec, exec, s[18:19]
	s_waitcnt lgkmcnt(0)
	; wave barrier
	s_and_saveexec_b64 s[16:17], s[4:5]
	s_cbranch_execz .LBB0_5
; %bb.19:                               ;   in Loop: Header=BB0_6 Depth=1
	global_load_dwordx2 v[8:9], v3, s[0:1]
	ds_read_b64 v[16:17], v3 offset:16384
	s_mov_b64 s[18:19], 0
	v_mov_b32_e32 v10, v2
	v_mov_b32_e32 v11, v0
	s_waitcnt vmcnt(0) lgkmcnt(0)
	v_mul_f64 v[8:9], v[16:17], -v[8:9]
.LBB0_20:                               ;   Parent Loop BB0_6 Depth=1
                                        ; =>  This Inner Loop Header: Depth=2
	global_load_dwordx2 v[16:17], v[6:7], off
	ds_read_b64 v[18:19], v10
	v_add_u32_e32 v11, 64, v11
	v_cmp_le_i32_e32 vcc, s6, v11
	s_or_b64 s[18:19], vcc, s[18:19]
	v_add_u32_e32 v10, 0x200, v10
	s_waitcnt vmcnt(0) lgkmcnt(0)
	v_fmac_f64_e32 v[16:17], v[8:9], v[18:19]
	global_store_dwordx2 v[6:7], v[16:17], off
	v_lshl_add_u64 v[6:7], v[6:7], 0, s[14:15]
	s_andn2_b64 exec, exec, s[18:19]
	s_cbranch_execnz .LBB0_20
	s_branch .LBB0_5
.LBB0_21:
	s_endpgm
	.section	.rodata,"a",@progbits
	.p2align	6, 0x0
	.amdhsa_kernel _ZN9rocsolver6v33100L22larf_left_kernel_smallILi64EdiPdEEvT1_S3_T2_lS3_lPKT0_lS4_lS3_l
		.amdhsa_group_segment_fixed_size 16896
		.amdhsa_private_segment_fixed_size 0
		.amdhsa_kernarg_size 88
		.amdhsa_user_sgpr_count 2
		.amdhsa_user_sgpr_dispatch_ptr 0
		.amdhsa_user_sgpr_queue_ptr 0
		.amdhsa_user_sgpr_kernarg_segment_ptr 1
		.amdhsa_user_sgpr_dispatch_id 0
		.amdhsa_user_sgpr_kernarg_preload_length 0
		.amdhsa_user_sgpr_kernarg_preload_offset 0
		.amdhsa_user_sgpr_private_segment_size 0
		.amdhsa_uses_dynamic_stack 0
		.amdhsa_enable_private_segment 0
		.amdhsa_system_sgpr_workgroup_id_x 1
		.amdhsa_system_sgpr_workgroup_id_y 1
		.amdhsa_system_sgpr_workgroup_id_z 0
		.amdhsa_system_sgpr_workgroup_info 0
		.amdhsa_system_vgpr_workitem_id 0
		.amdhsa_next_free_vgpr 129
		.amdhsa_next_free_sgpr 96
		.amdhsa_accum_offset 24
		.amdhsa_reserve_vcc 1
		.amdhsa_float_round_mode_32 0
		.amdhsa_float_round_mode_16_64 0
		.amdhsa_float_denorm_mode_32 3
		.amdhsa_float_denorm_mode_16_64 3
		.amdhsa_dx10_clamp 1
		.amdhsa_ieee_mode 1
		.amdhsa_fp16_overflow 0
		.amdhsa_tg_split 0
		.amdhsa_exception_fp_ieee_invalid_op 0
		.amdhsa_exception_fp_denorm_src 0
		.amdhsa_exception_fp_ieee_div_zero 0
		.amdhsa_exception_fp_ieee_overflow 0
		.amdhsa_exception_fp_ieee_underflow 0
		.amdhsa_exception_fp_ieee_inexact 0
		.amdhsa_exception_int_div_zero 0
	.end_amdhsa_kernel
	.section	.text._ZN9rocsolver6v33100L22larf_left_kernel_smallILi64EdiPdEEvT1_S3_T2_lS3_lPKT0_lS4_lS3_l,"axG",@progbits,_ZN9rocsolver6v33100L22larf_left_kernel_smallILi64EdiPdEEvT1_S3_T2_lS3_lPKT0_lS4_lS3_l,comdat
.Lfunc_end0:
	.size	_ZN9rocsolver6v33100L22larf_left_kernel_smallILi64EdiPdEEvT1_S3_T2_lS3_lPKT0_lS4_lS3_l, .Lfunc_end0-_ZN9rocsolver6v33100L22larf_left_kernel_smallILi64EdiPdEEvT1_S3_T2_lS3_lPKT0_lS4_lS3_l
                                        ; -- End function
	.set _ZN9rocsolver6v33100L22larf_left_kernel_smallILi64EdiPdEEvT1_S3_T2_lS3_lPKT0_lS4_lS3_l.num_vgpr, 22
	.set _ZN9rocsolver6v33100L22larf_left_kernel_smallILi64EdiPdEEvT1_S3_T2_lS3_lPKT0_lS4_lS3_l.num_agpr, 0
	.set _ZN9rocsolver6v33100L22larf_left_kernel_smallILi64EdiPdEEvT1_S3_T2_lS3_lPKT0_lS4_lS3_l.numbered_sgpr, 28
	.set _ZN9rocsolver6v33100L22larf_left_kernel_smallILi64EdiPdEEvT1_S3_T2_lS3_lPKT0_lS4_lS3_l.num_named_barrier, 0
	.set _ZN9rocsolver6v33100L22larf_left_kernel_smallILi64EdiPdEEvT1_S3_T2_lS3_lPKT0_lS4_lS3_l.private_seg_size, 0
	.set _ZN9rocsolver6v33100L22larf_left_kernel_smallILi64EdiPdEEvT1_S3_T2_lS3_lPKT0_lS4_lS3_l.uses_vcc, 1
	.set _ZN9rocsolver6v33100L22larf_left_kernel_smallILi64EdiPdEEvT1_S3_T2_lS3_lPKT0_lS4_lS3_l.uses_flat_scratch, 0
	.set _ZN9rocsolver6v33100L22larf_left_kernel_smallILi64EdiPdEEvT1_S3_T2_lS3_lPKT0_lS4_lS3_l.has_dyn_sized_stack, 0
	.set _ZN9rocsolver6v33100L22larf_left_kernel_smallILi64EdiPdEEvT1_S3_T2_lS3_lPKT0_lS4_lS3_l.has_recursion, 0
	.set _ZN9rocsolver6v33100L22larf_left_kernel_smallILi64EdiPdEEvT1_S3_T2_lS3_lPKT0_lS4_lS3_l.has_indirect_call, 0
	.section	.AMDGPU.csdata,"",@progbits
; Kernel info:
; codeLenInByte = 1044
; TotalNumSgprs: 34
; NumVgprs: 22
; NumAgprs: 0
; TotalNumVgprs: 22
; ScratchSize: 0
; MemoryBound: 0
; FloatMode: 240
; IeeeMode: 1
; LDSByteSize: 16896 bytes/workgroup (compile time only)
; SGPRBlocks: 12
; VGPRBlocks: 16
; NumSGPRsForWavesPerEU: 102
; NumVGPRsForWavesPerEU: 129
; AccumOffset: 24
; Occupancy: 3
; WaveLimiterHint : 0
; COMPUTE_PGM_RSRC2:SCRATCH_EN: 0
; COMPUTE_PGM_RSRC2:USER_SGPR: 2
; COMPUTE_PGM_RSRC2:TRAP_HANDLER: 0
; COMPUTE_PGM_RSRC2:TGID_X_EN: 1
; COMPUTE_PGM_RSRC2:TGID_Y_EN: 1
; COMPUTE_PGM_RSRC2:TGID_Z_EN: 0
; COMPUTE_PGM_RSRC2:TIDIG_COMP_CNT: 0
; COMPUTE_PGM_RSRC3_GFX90A:ACCUM_OFFSET: 5
; COMPUTE_PGM_RSRC3_GFX90A:TG_SPLIT: 0
	.section	.text._ZN9rocsolver6v33100L22larf_left_kernel_smallILi128EdiPdEEvT1_S3_T2_lS3_lPKT0_lS4_lS3_l,"axG",@progbits,_ZN9rocsolver6v33100L22larf_left_kernel_smallILi128EdiPdEEvT1_S3_T2_lS3_lPKT0_lS4_lS3_l,comdat
	.globl	_ZN9rocsolver6v33100L22larf_left_kernel_smallILi128EdiPdEEvT1_S3_T2_lS3_lPKT0_lS4_lS3_l ; -- Begin function _ZN9rocsolver6v33100L22larf_left_kernel_smallILi128EdiPdEEvT1_S3_T2_lS3_lPKT0_lS4_lS3_l
	.p2align	8
	.type	_ZN9rocsolver6v33100L22larf_left_kernel_smallILi128EdiPdEEvT1_S3_T2_lS3_lPKT0_lS4_lS3_l,@function
_ZN9rocsolver6v33100L22larf_left_kernel_smallILi128EdiPdEEvT1_S3_T2_lS3_lPKT0_lS4_lS3_l: ; @_ZN9rocsolver6v33100L22larf_left_kernel_smallILi128EdiPdEEvT1_S3_T2_lS3_lPKT0_lS4_lS3_l
; %bb.0:
	s_load_dwordx2 s[16:17], s[0:1], 0x0
	s_load_dwordx8 s[8:15], s[0:1], 0x20
	s_load_dwordx2 s[18:19], s[0:1], 0x40
	s_ashr_i32 s22, s2, 31
	v_lshlrev_b32_e32 v2, 3, v0
	s_waitcnt lgkmcnt(0)
	v_cmp_gt_i32_e64 s[6:7], s16, v0
	s_and_saveexec_b64 s[4:5], s[6:7]
	s_cbranch_execz .LBB1_3
; %bb.1:
	s_load_dwordx4 s[24:27], s[0:1], 0x8
	s_load_dword s20, s[0:1], 0x18
	s_mul_i32 s21, s8, s22
	s_mul_hi_u32 s23, s8, s2
	s_add_i32 s21, s23, s21
	s_mul_i32 s9, s9, s2
	s_add_i32 s9, s21, s9
	s_mul_i32 s8, s8, s2
	s_lshl_b64 s[8:9], s[8:9], 3
	s_waitcnt lgkmcnt(0)
	s_add_u32 s21, s24, s8
	s_addc_u32 s23, s25, s9
	s_lshl_b64 s[8:9], s[26:27], 3
	s_add_u32 s8, s21, s8
	s_addc_u32 s9, s23, s9
	s_sub_i32 s21, 1, s16
	s_mul_i32 s21, s20, s21
	s_cmp_lt_i32 s20, 1
	s_cselect_b32 s21, s21, 0
	v_mul_lo_u32 v1, v0, s20
	v_add_u32_e32 v4, s21, v1
	s_lshl_b32 s23, s20, 7
	v_lshlrev_b32_e32 v1, 3, v0
	s_mov_b64 s[20:21], 0
	v_mov_b32_e32 v3, v0
.LBB1_2:                                ; =>This Inner Loop Header: Depth=1
	v_ashrrev_i32_e32 v5, 31, v4
	v_lshl_add_u64 v[6:7], v[4:5], 3, s[8:9]
	global_load_dwordx2 v[6:7], v[6:7], off
	v_add_u32_e32 v3, 0x80, v3
	v_cmp_le_i32_e32 vcc, s16, v3
	v_add_u32_e32 v4, s23, v4
	s_or_b64 s[20:21], vcc, s[20:21]
	s_waitcnt vmcnt(0)
	ds_write_b64 v1, v[6:7]
	v_add_u32_e32 v1, 0x400, v1
	s_andn2_b64 exec, exec, s[20:21]
	s_cbranch_execnz .LBB1_2
.LBB1_3:
	s_or_b64 exec, exec, s[4:5]
	s_cmp_ge_i32 s3, s17
	s_waitcnt lgkmcnt(0)
	s_barrier
	s_cbranch_scc1 .LBB1_23
; %bb.4:
	s_load_dword s23, s[0:1], 0x48
	s_load_dwordx2 s[20:21], s[0:1], 0x50
	s_mul_i32 s0, s12, s22
	s_mul_hi_u32 s1, s12, s2
	s_add_i32 s0, s1, s0
	s_mul_i32 s1, s13, s2
	s_add_i32 s1, s0, s1
	s_mul_i32 s0, s12, s2
	s_lshl_b64 s[0:1], s[0:1], 3
	s_add_u32 s8, s10, s0
	s_addc_u32 s9, s11, s1
	s_cmp_gt_i32 s16, 1
	s_waitcnt lgkmcnt(0)
	s_mul_i32 s12, s20, s22
	s_mul_hi_u32 s13, s20, s2
	s_cselect_b64 s[10:11], -1, 0
	s_add_i32 s12, s13, s12
	s_mul_i32 s13, s21, s2
	s_add_i32 s13, s12, s13
	s_mul_i32 s12, s20, s2
	s_lshl_b64 s[12:13], s[12:13], 3
	s_lshl_b64 s[18:19], s[18:19], 3
	s_add_u32 s2, s12, s18
	s_addc_u32 s13, s13, s19
	s_add_u32 s12, s14, s2
	v_mbcnt_lo_u32_b32 v6, -1, 0
	v_and_b32_e32 v1, 63, v0
	v_mov_b32_e32 v3, 0
	s_addc_u32 s13, s15, s13
	v_mbcnt_hi_u32_b32 v14, -1, v6
	v_mov_b32_e32 v6, 0x80
	v_cmp_eq_u32_e64 s[0:1], 0, v1
	v_lshrrev_b32_e32 v1, 3, v0
	v_cmp_eq_u32_e64 s[4:5], 0, v0
	v_lshl_add_u64 v[4:5], s[12:13], 0, v[2:3]
	s_mul_i32 s12, s3, s23
	s_lshl_b32 s2, s23, 6
	s_mov_b64 s[14:15], 0x400
	v_and_b32_e32 v15, 63, v14
	v_lshl_or_b32 v16, v14, 2, v6
	s_branch .LBB1_6
.LBB1_5:                                ;   in Loop: Header=BB1_6 Depth=1
	s_or_b64 exec, exec, s[18:19]
	s_add_i32 s3, s3, 64
	s_add_i32 s12, s12, s2
	s_cmp_ge_i32 s3, s17
	s_cbranch_scc1 .LBB1_23
.LBB1_6:                                ; =>This Loop Header: Depth=1
                                        ;     Child Loop BB1_8 Depth 2
                                        ;     Child Loop BB1_22 Depth 2
	s_ashr_i32 s13, s12, 31
	v_lshl_add_u64 v[6:7], s[12:13], 3, v[4:5]
	v_mov_b64_e32 v[8:9], 0
	s_and_saveexec_b64 s[18:19], s[6:7]
	s_cbranch_execz .LBB1_10
; %bb.7:                                ;   in Loop: Header=BB1_6 Depth=1
	v_mov_b64_e32 v[8:9], 0
	s_mov_b64 s[20:21], 0
	v_mov_b64_e32 v[10:11], v[6:7]
	v_mov_b32_e32 v12, v2
	v_mov_b32_e32 v13, v0
.LBB1_8:                                ;   Parent Loop BB1_6 Depth=1
                                        ; =>  This Inner Loop Header: Depth=2
	global_load_dwordx2 v[18:19], v[10:11], off
	ds_read_b64 v[20:21], v12
	v_add_u32_e32 v13, 0x80, v13
	v_cmp_le_i32_e32 vcc, s16, v13
	v_add_u32_e32 v12, 0x400, v12
	v_lshl_add_u64 v[10:11], v[10:11], 0, s[14:15]
	s_or_b64 s[20:21], vcc, s[20:21]
	s_waitcnt vmcnt(0) lgkmcnt(0)
	v_fmac_f64_e32 v[8:9], v[20:21], v[18:19]
	s_andn2_b64 exec, exec, s[20:21]
	s_cbranch_execnz .LBB1_8
; %bb.9:                                ;   in Loop: Header=BB1_6 Depth=1
	s_or_b64 exec, exec, s[20:21]
.LBB1_10:                               ;   in Loop: Header=BB1_6 Depth=1
	s_or_b64 exec, exec, s[18:19]
	s_and_b64 vcc, exec, s[10:11]
	s_cbranch_vccz .LBB1_17
; %bb.11:                               ;   in Loop: Header=BB1_6 Depth=1
	v_cmp_ne_u32_e32 vcc, 63, v15
	s_nop 1
	v_addc_co_u32_e32 v10, vcc, 0, v14, vcc
	v_lshlrev_b32_e32 v11, 2, v10
	ds_bpermute_b32 v10, v11, v8
	ds_bpermute_b32 v11, v11, v9
	v_cmp_gt_u32_e32 vcc, 62, v15
	s_waitcnt lgkmcnt(0)
	v_add_f64 v[10:11], v[8:9], v[10:11]
	v_cndmask_b32_e64 v12, 0, 2, vcc
	v_add_lshl_u32 v13, v12, v14, 2
	ds_bpermute_b32 v12, v13, v10
	ds_bpermute_b32 v13, v13, v11
	v_cmp_gt_u32_e32 vcc, 60, v15
	s_waitcnt lgkmcnt(0)
	v_add_f64 v[10:11], v[10:11], v[12:13]
	v_cndmask_b32_e64 v12, 0, 4, vcc
	v_add_lshl_u32 v13, v12, v14, 2
	ds_bpermute_b32 v12, v13, v10
	ds_bpermute_b32 v13, v13, v11
	v_cmp_gt_u32_e32 vcc, 56, v15
	s_waitcnt lgkmcnt(0)
	v_add_f64 v[10:11], v[10:11], v[12:13]
	v_cndmask_b32_e64 v12, 0, 8, vcc
	v_add_lshl_u32 v13, v12, v14, 2
	ds_bpermute_b32 v12, v13, v10
	ds_bpermute_b32 v13, v13, v11
	v_cmp_gt_u32_e32 vcc, 48, v15
	s_waitcnt lgkmcnt(0)
	v_add_f64 v[10:11], v[10:11], v[12:13]
	v_cndmask_b32_e64 v12, 0, 16, vcc
	v_add_lshl_u32 v13, v12, v14, 2
	ds_bpermute_b32 v12, v13, v10
	ds_bpermute_b32 v13, v13, v11
	s_waitcnt lgkmcnt(0)
	v_add_f64 v[10:11], v[10:11], v[12:13]
	ds_bpermute_b32 v12, v16, v10
	ds_bpermute_b32 v13, v16, v11
	s_waitcnt lgkmcnt(0)
	v_add_f64 v[12:13], v[10:11], v[12:13]
	s_and_saveexec_b64 s[18:19], s[0:1]
; %bb.12:                               ;   in Loop: Header=BB1_6 Depth=1
	ds_write_b64 v1, v[12:13] offset:16384
; %bb.13:                               ;   in Loop: Header=BB1_6 Depth=1
	s_or_b64 exec, exec, s[18:19]
	s_mov_b64 s[20:21], 0
	s_mov_b64 s[18:19], 0
	s_waitcnt lgkmcnt(0)
	s_barrier
                                        ; implicit-def: $vgpr10_vgpr11
	s_and_saveexec_b64 s[22:23], s[4:5]
	s_xor_b64 s[22:23], exec, s[22:23]
	s_cbranch_execz .LBB1_15
; %bb.14:                               ;   in Loop: Header=BB1_6 Depth=1
	ds_read_b64 v[10:11], v3 offset:16392
	s_mov_b64 s[18:19], exec
	s_waitcnt lgkmcnt(0)
	v_add_f64 v[10:11], v[12:13], v[10:11]
.LBB1_15:                               ;   in Loop: Header=BB1_6 Depth=1
	s_or_b64 exec, exec, s[22:23]
	s_and_b64 vcc, exec, s[20:21]
	s_cbranch_vccnz .LBB1_18
.LBB1_16:                               ;   in Loop: Header=BB1_6 Depth=1
	v_mov_b64_e32 v[8:9], v[10:11]
	s_and_saveexec_b64 s[20:21], s[18:19]
	s_cbranch_execnz .LBB1_19
	s_branch .LBB1_20
.LBB1_17:                               ;   in Loop: Header=BB1_6 Depth=1
	s_mov_b64 s[18:19], 0
                                        ; implicit-def: $vgpr10_vgpr11
	s_cbranch_execz .LBB1_16
.LBB1_18:                               ;   in Loop: Header=BB1_6 Depth=1
	s_andn2_b64 s[18:19], s[18:19], exec
	s_and_b64 s[20:21], s[4:5], exec
	s_or_b64 s[18:19], s[18:19], s[20:21]
	s_and_saveexec_b64 s[20:21], s[18:19]
.LBB1_19:                               ;   in Loop: Header=BB1_6 Depth=1
	ds_write_b64 v3, v[8:9] offset:16384
.LBB1_20:                               ;   in Loop: Header=BB1_6 Depth=1
	s_or_b64 exec, exec, s[20:21]
	s_waitcnt lgkmcnt(0)
	s_barrier
	s_and_saveexec_b64 s[18:19], s[6:7]
	s_cbranch_execz .LBB1_5
; %bb.21:                               ;   in Loop: Header=BB1_6 Depth=1
	global_load_dwordx2 v[8:9], v3, s[8:9]
	ds_read_b64 v[12:13], v3 offset:16384
	s_mov_b64 s[20:21], 0
	v_mov_b32_e32 v10, v2
	v_mov_b32_e32 v11, v0
	s_waitcnt vmcnt(0) lgkmcnt(0)
	v_mul_f64 v[8:9], v[12:13], -v[8:9]
.LBB1_22:                               ;   Parent Loop BB1_6 Depth=1
                                        ; =>  This Inner Loop Header: Depth=2
	global_load_dwordx2 v[12:13], v[6:7], off
	ds_read_b64 v[18:19], v10
	v_add_u32_e32 v11, 0x80, v11
	v_cmp_le_i32_e32 vcc, s16, v11
	s_or_b64 s[20:21], vcc, s[20:21]
	v_add_u32_e32 v10, 0x400, v10
	s_waitcnt vmcnt(0) lgkmcnt(0)
	v_fmac_f64_e32 v[12:13], v[8:9], v[18:19]
	global_store_dwordx2 v[6:7], v[12:13], off
	v_lshl_add_u64 v[6:7], v[6:7], 0, s[14:15]
	s_andn2_b64 exec, exec, s[20:21]
	s_cbranch_execnz .LBB1_22
	s_branch .LBB1_5
.LBB1_23:
	s_endpgm
	.section	.rodata,"a",@progbits
	.p2align	6, 0x0
	.amdhsa_kernel _ZN9rocsolver6v33100L22larf_left_kernel_smallILi128EdiPdEEvT1_S3_T2_lS3_lPKT0_lS4_lS3_l
		.amdhsa_group_segment_fixed_size 17408
		.amdhsa_private_segment_fixed_size 0
		.amdhsa_kernarg_size 88
		.amdhsa_user_sgpr_count 2
		.amdhsa_user_sgpr_dispatch_ptr 0
		.amdhsa_user_sgpr_queue_ptr 0
		.amdhsa_user_sgpr_kernarg_segment_ptr 1
		.amdhsa_user_sgpr_dispatch_id 0
		.amdhsa_user_sgpr_kernarg_preload_length 0
		.amdhsa_user_sgpr_kernarg_preload_offset 0
		.amdhsa_user_sgpr_private_segment_size 0
		.amdhsa_uses_dynamic_stack 0
		.amdhsa_enable_private_segment 0
		.amdhsa_system_sgpr_workgroup_id_x 1
		.amdhsa_system_sgpr_workgroup_id_y 1
		.amdhsa_system_sgpr_workgroup_id_z 0
		.amdhsa_system_sgpr_workgroup_info 0
		.amdhsa_system_vgpr_workitem_id 0
		.amdhsa_next_free_vgpr 81
		.amdhsa_next_free_sgpr 96
		.amdhsa_accum_offset 24
		.amdhsa_reserve_vcc 1
		.amdhsa_float_round_mode_32 0
		.amdhsa_float_round_mode_16_64 0
		.amdhsa_float_denorm_mode_32 3
		.amdhsa_float_denorm_mode_16_64 3
		.amdhsa_dx10_clamp 1
		.amdhsa_ieee_mode 1
		.amdhsa_fp16_overflow 0
		.amdhsa_tg_split 0
		.amdhsa_exception_fp_ieee_invalid_op 0
		.amdhsa_exception_fp_denorm_src 0
		.amdhsa_exception_fp_ieee_div_zero 0
		.amdhsa_exception_fp_ieee_overflow 0
		.amdhsa_exception_fp_ieee_underflow 0
		.amdhsa_exception_fp_ieee_inexact 0
		.amdhsa_exception_int_div_zero 0
	.end_amdhsa_kernel
	.section	.text._ZN9rocsolver6v33100L22larf_left_kernel_smallILi128EdiPdEEvT1_S3_T2_lS3_lPKT0_lS4_lS3_l,"axG",@progbits,_ZN9rocsolver6v33100L22larf_left_kernel_smallILi128EdiPdEEvT1_S3_T2_lS3_lPKT0_lS4_lS3_l,comdat
.Lfunc_end1:
	.size	_ZN9rocsolver6v33100L22larf_left_kernel_smallILi128EdiPdEEvT1_S3_T2_lS3_lPKT0_lS4_lS3_l, .Lfunc_end1-_ZN9rocsolver6v33100L22larf_left_kernel_smallILi128EdiPdEEvT1_S3_T2_lS3_lPKT0_lS4_lS3_l
                                        ; -- End function
	.set _ZN9rocsolver6v33100L22larf_left_kernel_smallILi128EdiPdEEvT1_S3_T2_lS3_lPKT0_lS4_lS3_l.num_vgpr, 22
	.set _ZN9rocsolver6v33100L22larf_left_kernel_smallILi128EdiPdEEvT1_S3_T2_lS3_lPKT0_lS4_lS3_l.num_agpr, 0
	.set _ZN9rocsolver6v33100L22larf_left_kernel_smallILi128EdiPdEEvT1_S3_T2_lS3_lPKT0_lS4_lS3_l.numbered_sgpr, 28
	.set _ZN9rocsolver6v33100L22larf_left_kernel_smallILi128EdiPdEEvT1_S3_T2_lS3_lPKT0_lS4_lS3_l.num_named_barrier, 0
	.set _ZN9rocsolver6v33100L22larf_left_kernel_smallILi128EdiPdEEvT1_S3_T2_lS3_lPKT0_lS4_lS3_l.private_seg_size, 0
	.set _ZN9rocsolver6v33100L22larf_left_kernel_smallILi128EdiPdEEvT1_S3_T2_lS3_lPKT0_lS4_lS3_l.uses_vcc, 1
	.set _ZN9rocsolver6v33100L22larf_left_kernel_smallILi128EdiPdEEvT1_S3_T2_lS3_lPKT0_lS4_lS3_l.uses_flat_scratch, 0
	.set _ZN9rocsolver6v33100L22larf_left_kernel_smallILi128EdiPdEEvT1_S3_T2_lS3_lPKT0_lS4_lS3_l.has_dyn_sized_stack, 0
	.set _ZN9rocsolver6v33100L22larf_left_kernel_smallILi128EdiPdEEvT1_S3_T2_lS3_lPKT0_lS4_lS3_l.has_recursion, 0
	.set _ZN9rocsolver6v33100L22larf_left_kernel_smallILi128EdiPdEEvT1_S3_T2_lS3_lPKT0_lS4_lS3_l.has_indirect_call, 0
	.section	.AMDGPU.csdata,"",@progbits
; Kernel info:
; codeLenInByte = 1132
; TotalNumSgprs: 34
; NumVgprs: 22
; NumAgprs: 0
; TotalNumVgprs: 22
; ScratchSize: 0
; MemoryBound: 0
; FloatMode: 240
; IeeeMode: 1
; LDSByteSize: 17408 bytes/workgroup (compile time only)
; SGPRBlocks: 12
; VGPRBlocks: 10
; NumSGPRsForWavesPerEU: 102
; NumVGPRsForWavesPerEU: 81
; AccumOffset: 24
; Occupancy: 5
; WaveLimiterHint : 0
; COMPUTE_PGM_RSRC2:SCRATCH_EN: 0
; COMPUTE_PGM_RSRC2:USER_SGPR: 2
; COMPUTE_PGM_RSRC2:TRAP_HANDLER: 0
; COMPUTE_PGM_RSRC2:TGID_X_EN: 1
; COMPUTE_PGM_RSRC2:TGID_Y_EN: 1
; COMPUTE_PGM_RSRC2:TGID_Z_EN: 0
; COMPUTE_PGM_RSRC2:TIDIG_COMP_CNT: 0
; COMPUTE_PGM_RSRC3_GFX90A:ACCUM_OFFSET: 5
; COMPUTE_PGM_RSRC3_GFX90A:TG_SPLIT: 0
	.section	.text._ZN9rocsolver6v33100L22larf_left_kernel_smallILi256EdiPdEEvT1_S3_T2_lS3_lPKT0_lS4_lS3_l,"axG",@progbits,_ZN9rocsolver6v33100L22larf_left_kernel_smallILi256EdiPdEEvT1_S3_T2_lS3_lPKT0_lS4_lS3_l,comdat
	.globl	_ZN9rocsolver6v33100L22larf_left_kernel_smallILi256EdiPdEEvT1_S3_T2_lS3_lPKT0_lS4_lS3_l ; -- Begin function _ZN9rocsolver6v33100L22larf_left_kernel_smallILi256EdiPdEEvT1_S3_T2_lS3_lPKT0_lS4_lS3_l
	.p2align	8
	.type	_ZN9rocsolver6v33100L22larf_left_kernel_smallILi256EdiPdEEvT1_S3_T2_lS3_lPKT0_lS4_lS3_l,@function
_ZN9rocsolver6v33100L22larf_left_kernel_smallILi256EdiPdEEvT1_S3_T2_lS3_lPKT0_lS4_lS3_l: ; @_ZN9rocsolver6v33100L22larf_left_kernel_smallILi256EdiPdEEvT1_S3_T2_lS3_lPKT0_lS4_lS3_l
; %bb.0:
	s_load_dwordx2 s[16:17], s[0:1], 0x0
	s_load_dwordx8 s[8:15], s[0:1], 0x20
	s_load_dwordx2 s[18:19], s[0:1], 0x40
	s_ashr_i32 s22, s2, 31
	v_lshlrev_b32_e32 v2, 3, v0
	s_waitcnt lgkmcnt(0)
	v_cmp_gt_i32_e64 s[6:7], s16, v0
	s_and_saveexec_b64 s[4:5], s[6:7]
	s_cbranch_execz .LBB2_3
; %bb.1:
	s_load_dwordx4 s[24:27], s[0:1], 0x8
	s_load_dword s20, s[0:1], 0x18
	s_mul_i32 s21, s8, s22
	s_mul_hi_u32 s23, s8, s2
	s_add_i32 s21, s23, s21
	s_mul_i32 s9, s9, s2
	s_add_i32 s9, s21, s9
	s_mul_i32 s8, s8, s2
	s_lshl_b64 s[8:9], s[8:9], 3
	s_waitcnt lgkmcnt(0)
	s_add_u32 s21, s24, s8
	s_addc_u32 s23, s25, s9
	s_lshl_b64 s[8:9], s[26:27], 3
	s_add_u32 s8, s21, s8
	s_addc_u32 s9, s23, s9
	s_sub_i32 s21, 1, s16
	s_mul_i32 s21, s20, s21
	s_cmp_lt_i32 s20, 1
	s_cselect_b32 s21, s21, 0
	v_mul_lo_u32 v1, v0, s20
	v_add_u32_e32 v4, s21, v1
	s_lshl_b32 s23, s20, 8
	v_lshlrev_b32_e32 v1, 3, v0
	s_mov_b64 s[20:21], 0
	v_mov_b32_e32 v3, v0
.LBB2_2:                                ; =>This Inner Loop Header: Depth=1
	v_ashrrev_i32_e32 v5, 31, v4
	v_lshl_add_u64 v[6:7], v[4:5], 3, s[8:9]
	global_load_dwordx2 v[6:7], v[6:7], off
	v_add_u32_e32 v3, 0x100, v3
	v_cmp_le_i32_e32 vcc, s16, v3
	v_add_u32_e32 v4, s23, v4
	s_or_b64 s[20:21], vcc, s[20:21]
	s_waitcnt vmcnt(0)
	ds_write_b64 v1, v[6:7]
	v_add_u32_e32 v1, 0x800, v1
	s_andn2_b64 exec, exec, s[20:21]
	s_cbranch_execnz .LBB2_2
.LBB2_3:
	s_or_b64 exec, exec, s[4:5]
	s_cmp_ge_i32 s3, s17
	s_waitcnt lgkmcnt(0)
	s_barrier
	s_cbranch_scc1 .LBB2_23
; %bb.4:
	s_load_dword s23, s[0:1], 0x48
	s_load_dwordx2 s[20:21], s[0:1], 0x50
	s_mul_i32 s0, s12, s22
	s_mul_hi_u32 s1, s12, s2
	s_add_i32 s0, s1, s0
	s_mul_i32 s1, s13, s2
	s_add_i32 s1, s0, s1
	s_mul_i32 s0, s12, s2
	s_lshl_b64 s[0:1], s[0:1], 3
	s_add_u32 s8, s10, s0
	s_addc_u32 s9, s11, s1
	s_cmp_gt_i32 s16, 1
	s_waitcnt lgkmcnt(0)
	s_mul_i32 s12, s20, s22
	s_mul_hi_u32 s13, s20, s2
	s_cselect_b64 s[10:11], -1, 0
	s_add_i32 s12, s13, s12
	s_mul_i32 s13, s21, s2
	s_add_i32 s13, s12, s13
	s_mul_i32 s12, s20, s2
	s_lshl_b64 s[12:13], s[12:13], 3
	s_lshl_b64 s[18:19], s[18:19], 3
	s_add_u32 s2, s12, s18
	s_addc_u32 s13, s13, s19
	s_add_u32 s12, s14, s2
	v_mbcnt_lo_u32_b32 v6, -1, 0
	v_and_b32_e32 v1, 63, v0
	v_mov_b32_e32 v3, 0
	s_addc_u32 s13, s15, s13
	v_mbcnt_hi_u32_b32 v15, -1, v6
	v_mov_b32_e32 v6, 0x80
	v_cmp_eq_u32_e64 s[0:1], 0, v1
	v_lshrrev_b32_e32 v1, 3, v0
	v_cmp_eq_u32_e64 s[4:5], 0, v0
	v_lshl_add_u64 v[4:5], s[12:13], 0, v[2:3]
	s_mul_i32 s12, s3, s23
	s_lshl_b32 s2, s23, 6
	s_mov_b64 s[14:15], 0x800
	v_mov_b32_e32 v14, 0x4008
	v_and_b32_e32 v16, 63, v15
	v_lshl_or_b32 v17, v15, 2, v6
	s_branch .LBB2_6
.LBB2_5:                                ;   in Loop: Header=BB2_6 Depth=1
	s_or_b64 exec, exec, s[18:19]
	s_add_i32 s3, s3, 64
	s_add_i32 s12, s12, s2
	s_cmp_ge_i32 s3, s17
	s_cbranch_scc1 .LBB2_23
.LBB2_6:                                ; =>This Loop Header: Depth=1
                                        ;     Child Loop BB2_8 Depth 2
                                        ;     Child Loop BB2_22 Depth 2
	s_ashr_i32 s13, s12, 31
	v_lshl_add_u64 v[6:7], s[12:13], 3, v[4:5]
	v_mov_b64_e32 v[8:9], 0
	s_and_saveexec_b64 s[18:19], s[6:7]
	s_cbranch_execz .LBB2_10
; %bb.7:                                ;   in Loop: Header=BB2_6 Depth=1
	v_mov_b64_e32 v[8:9], 0
	s_mov_b64 s[20:21], 0
	v_mov_b64_e32 v[10:11], v[6:7]
	v_mov_b32_e32 v12, v2
	v_mov_b32_e32 v13, v0
.LBB2_8:                                ;   Parent Loop BB2_6 Depth=1
                                        ; =>  This Inner Loop Header: Depth=2
	global_load_dwordx2 v[18:19], v[10:11], off
	ds_read_b64 v[20:21], v12
	v_add_u32_e32 v13, 0x100, v13
	v_cmp_le_i32_e32 vcc, s16, v13
	v_add_u32_e32 v12, 0x800, v12
	v_lshl_add_u64 v[10:11], v[10:11], 0, s[14:15]
	s_or_b64 s[20:21], vcc, s[20:21]
	s_waitcnt vmcnt(0) lgkmcnt(0)
	v_fmac_f64_e32 v[8:9], v[20:21], v[18:19]
	s_andn2_b64 exec, exec, s[20:21]
	s_cbranch_execnz .LBB2_8
; %bb.9:                                ;   in Loop: Header=BB2_6 Depth=1
	s_or_b64 exec, exec, s[20:21]
.LBB2_10:                               ;   in Loop: Header=BB2_6 Depth=1
	s_or_b64 exec, exec, s[18:19]
	s_and_b64 vcc, exec, s[10:11]
	s_cbranch_vccz .LBB2_17
; %bb.11:                               ;   in Loop: Header=BB2_6 Depth=1
	v_cmp_ne_u32_e32 vcc, 63, v16
	s_nop 1
	v_addc_co_u32_e32 v10, vcc, 0, v15, vcc
	v_lshlrev_b32_e32 v11, 2, v10
	ds_bpermute_b32 v10, v11, v8
	ds_bpermute_b32 v11, v11, v9
	v_cmp_gt_u32_e32 vcc, 62, v16
	s_waitcnt lgkmcnt(0)
	v_add_f64 v[10:11], v[8:9], v[10:11]
	v_cndmask_b32_e64 v12, 0, 2, vcc
	v_add_lshl_u32 v13, v12, v15, 2
	ds_bpermute_b32 v12, v13, v10
	ds_bpermute_b32 v13, v13, v11
	v_cmp_gt_u32_e32 vcc, 60, v16
	s_waitcnt lgkmcnt(0)
	v_add_f64 v[10:11], v[10:11], v[12:13]
	v_cndmask_b32_e64 v12, 0, 4, vcc
	v_add_lshl_u32 v13, v12, v15, 2
	;; [unrolled: 7-line block ×4, first 2 shown]
	ds_bpermute_b32 v12, v13, v10
	ds_bpermute_b32 v13, v13, v11
	s_waitcnt lgkmcnt(0)
	v_add_f64 v[10:11], v[10:11], v[12:13]
	ds_bpermute_b32 v12, v17, v10
	ds_bpermute_b32 v13, v17, v11
	s_waitcnt lgkmcnt(0)
	v_add_f64 v[10:11], v[10:11], v[12:13]
	s_and_saveexec_b64 s[18:19], s[0:1]
; %bb.12:                               ;   in Loop: Header=BB2_6 Depth=1
	ds_write_b64 v1, v[10:11] offset:16384
; %bb.13:                               ;   in Loop: Header=BB2_6 Depth=1
	s_or_b64 exec, exec, s[18:19]
	s_mov_b64 s[20:21], 0
	s_mov_b64 s[18:19], 0
	s_waitcnt lgkmcnt(0)
	s_barrier
                                        ; implicit-def: $vgpr12_vgpr13
	s_and_saveexec_b64 s[22:23], s[4:5]
	s_xor_b64 s[22:23], exec, s[22:23]
	s_cbranch_execz .LBB2_15
; %bb.14:                               ;   in Loop: Header=BB2_6 Depth=1
	ds_read2_b64 v[18:21], v14 offset1:1
	ds_read_b64 v[12:13], v3 offset:16408
	s_mov_b64 s[18:19], exec
	s_waitcnt lgkmcnt(1)
	v_add_f64 v[10:11], v[10:11], v[18:19]
	v_add_f64 v[10:11], v[10:11], v[20:21]
	s_waitcnt lgkmcnt(0)
	v_add_f64 v[12:13], v[10:11], v[12:13]
.LBB2_15:                               ;   in Loop: Header=BB2_6 Depth=1
	s_or_b64 exec, exec, s[22:23]
	s_and_b64 vcc, exec, s[20:21]
	s_cbranch_vccnz .LBB2_18
.LBB2_16:                               ;   in Loop: Header=BB2_6 Depth=1
	v_mov_b64_e32 v[8:9], v[12:13]
	s_and_saveexec_b64 s[20:21], s[18:19]
	s_cbranch_execnz .LBB2_19
	s_branch .LBB2_20
.LBB2_17:                               ;   in Loop: Header=BB2_6 Depth=1
	s_mov_b64 s[18:19], 0
                                        ; implicit-def: $vgpr12_vgpr13
	s_cbranch_execz .LBB2_16
.LBB2_18:                               ;   in Loop: Header=BB2_6 Depth=1
	s_andn2_b64 s[18:19], s[18:19], exec
	s_and_b64 s[20:21], s[4:5], exec
	s_or_b64 s[18:19], s[18:19], s[20:21]
	s_and_saveexec_b64 s[20:21], s[18:19]
.LBB2_19:                               ;   in Loop: Header=BB2_6 Depth=1
	ds_write_b64 v3, v[8:9] offset:16384
.LBB2_20:                               ;   in Loop: Header=BB2_6 Depth=1
	s_or_b64 exec, exec, s[20:21]
	s_waitcnt lgkmcnt(0)
	s_barrier
	s_and_saveexec_b64 s[18:19], s[6:7]
	s_cbranch_execz .LBB2_5
; %bb.21:                               ;   in Loop: Header=BB2_6 Depth=1
	global_load_dwordx2 v[8:9], v3, s[8:9]
	ds_read_b64 v[12:13], v3 offset:16384
	s_mov_b64 s[20:21], 0
	v_mov_b32_e32 v10, v2
	v_mov_b32_e32 v11, v0
	s_waitcnt vmcnt(0) lgkmcnt(0)
	v_mul_f64 v[8:9], v[12:13], -v[8:9]
.LBB2_22:                               ;   Parent Loop BB2_6 Depth=1
                                        ; =>  This Inner Loop Header: Depth=2
	global_load_dwordx2 v[12:13], v[6:7], off
	ds_read_b64 v[18:19], v10
	v_add_u32_e32 v11, 0x100, v11
	v_cmp_le_i32_e32 vcc, s16, v11
	s_or_b64 s[20:21], vcc, s[20:21]
	v_add_u32_e32 v10, 0x800, v10
	s_waitcnt vmcnt(0) lgkmcnt(0)
	v_fmac_f64_e32 v[12:13], v[8:9], v[18:19]
	global_store_dwordx2 v[6:7], v[12:13], off
	v_lshl_add_u64 v[6:7], v[6:7], 0, s[14:15]
	s_andn2_b64 exec, exec, s[20:21]
	s_cbranch_execnz .LBB2_22
	s_branch .LBB2_5
.LBB2_23:
	s_endpgm
	.section	.rodata,"a",@progbits
	.p2align	6, 0x0
	.amdhsa_kernel _ZN9rocsolver6v33100L22larf_left_kernel_smallILi256EdiPdEEvT1_S3_T2_lS3_lPKT0_lS4_lS3_l
		.amdhsa_group_segment_fixed_size 18432
		.amdhsa_private_segment_fixed_size 0
		.amdhsa_kernarg_size 88
		.amdhsa_user_sgpr_count 2
		.amdhsa_user_sgpr_dispatch_ptr 0
		.amdhsa_user_sgpr_queue_ptr 0
		.amdhsa_user_sgpr_kernarg_segment_ptr 1
		.amdhsa_user_sgpr_dispatch_id 0
		.amdhsa_user_sgpr_kernarg_preload_length 0
		.amdhsa_user_sgpr_kernarg_preload_offset 0
		.amdhsa_user_sgpr_private_segment_size 0
		.amdhsa_uses_dynamic_stack 0
		.amdhsa_enable_private_segment 0
		.amdhsa_system_sgpr_workgroup_id_x 1
		.amdhsa_system_sgpr_workgroup_id_y 1
		.amdhsa_system_sgpr_workgroup_id_z 0
		.amdhsa_system_sgpr_workgroup_info 0
		.amdhsa_system_vgpr_workitem_id 0
		.amdhsa_next_free_vgpr 22
		.amdhsa_next_free_sgpr 28
		.amdhsa_accum_offset 24
		.amdhsa_reserve_vcc 1
		.amdhsa_float_round_mode_32 0
		.amdhsa_float_round_mode_16_64 0
		.amdhsa_float_denorm_mode_32 3
		.amdhsa_float_denorm_mode_16_64 3
		.amdhsa_dx10_clamp 1
		.amdhsa_ieee_mode 1
		.amdhsa_fp16_overflow 0
		.amdhsa_tg_split 0
		.amdhsa_exception_fp_ieee_invalid_op 0
		.amdhsa_exception_fp_denorm_src 0
		.amdhsa_exception_fp_ieee_div_zero 0
		.amdhsa_exception_fp_ieee_overflow 0
		.amdhsa_exception_fp_ieee_underflow 0
		.amdhsa_exception_fp_ieee_inexact 0
		.amdhsa_exception_int_div_zero 0
	.end_amdhsa_kernel
	.section	.text._ZN9rocsolver6v33100L22larf_left_kernel_smallILi256EdiPdEEvT1_S3_T2_lS3_lPKT0_lS4_lS3_l,"axG",@progbits,_ZN9rocsolver6v33100L22larf_left_kernel_smallILi256EdiPdEEvT1_S3_T2_lS3_lPKT0_lS4_lS3_l,comdat
.Lfunc_end2:
	.size	_ZN9rocsolver6v33100L22larf_left_kernel_smallILi256EdiPdEEvT1_S3_T2_lS3_lPKT0_lS4_lS3_l, .Lfunc_end2-_ZN9rocsolver6v33100L22larf_left_kernel_smallILi256EdiPdEEvT1_S3_T2_lS3_lPKT0_lS4_lS3_l
                                        ; -- End function
	.set _ZN9rocsolver6v33100L22larf_left_kernel_smallILi256EdiPdEEvT1_S3_T2_lS3_lPKT0_lS4_lS3_l.num_vgpr, 22
	.set _ZN9rocsolver6v33100L22larf_left_kernel_smallILi256EdiPdEEvT1_S3_T2_lS3_lPKT0_lS4_lS3_l.num_agpr, 0
	.set _ZN9rocsolver6v33100L22larf_left_kernel_smallILi256EdiPdEEvT1_S3_T2_lS3_lPKT0_lS4_lS3_l.numbered_sgpr, 28
	.set _ZN9rocsolver6v33100L22larf_left_kernel_smallILi256EdiPdEEvT1_S3_T2_lS3_lPKT0_lS4_lS3_l.num_named_barrier, 0
	.set _ZN9rocsolver6v33100L22larf_left_kernel_smallILi256EdiPdEEvT1_S3_T2_lS3_lPKT0_lS4_lS3_l.private_seg_size, 0
	.set _ZN9rocsolver6v33100L22larf_left_kernel_smallILi256EdiPdEEvT1_S3_T2_lS3_lPKT0_lS4_lS3_l.uses_vcc, 1
	.set _ZN9rocsolver6v33100L22larf_left_kernel_smallILi256EdiPdEEvT1_S3_T2_lS3_lPKT0_lS4_lS3_l.uses_flat_scratch, 0
	.set _ZN9rocsolver6v33100L22larf_left_kernel_smallILi256EdiPdEEvT1_S3_T2_lS3_lPKT0_lS4_lS3_l.has_dyn_sized_stack, 0
	.set _ZN9rocsolver6v33100L22larf_left_kernel_smallILi256EdiPdEEvT1_S3_T2_lS3_lPKT0_lS4_lS3_l.has_recursion, 0
	.set _ZN9rocsolver6v33100L22larf_left_kernel_smallILi256EdiPdEEvT1_S3_T2_lS3_lPKT0_lS4_lS3_l.has_indirect_call, 0
	.section	.AMDGPU.csdata,"",@progbits
; Kernel info:
; codeLenInByte = 1168
; TotalNumSgprs: 34
; NumVgprs: 22
; NumAgprs: 0
; TotalNumVgprs: 22
; ScratchSize: 0
; MemoryBound: 0
; FloatMode: 240
; IeeeMode: 1
; LDSByteSize: 18432 bytes/workgroup (compile time only)
; SGPRBlocks: 4
; VGPRBlocks: 2
; NumSGPRsForWavesPerEU: 34
; NumVGPRsForWavesPerEU: 22
; AccumOffset: 24
; Occupancy: 8
; WaveLimiterHint : 0
; COMPUTE_PGM_RSRC2:SCRATCH_EN: 0
; COMPUTE_PGM_RSRC2:USER_SGPR: 2
; COMPUTE_PGM_RSRC2:TRAP_HANDLER: 0
; COMPUTE_PGM_RSRC2:TGID_X_EN: 1
; COMPUTE_PGM_RSRC2:TGID_Y_EN: 1
; COMPUTE_PGM_RSRC2:TGID_Z_EN: 0
; COMPUTE_PGM_RSRC2:TIDIG_COMP_CNT: 0
; COMPUTE_PGM_RSRC3_GFX90A:ACCUM_OFFSET: 5
; COMPUTE_PGM_RSRC3_GFX90A:TG_SPLIT: 0
	.section	.text._ZN9rocsolver6v33100L22larf_left_kernel_smallILi512EdiPdEEvT1_S3_T2_lS3_lPKT0_lS4_lS3_l,"axG",@progbits,_ZN9rocsolver6v33100L22larf_left_kernel_smallILi512EdiPdEEvT1_S3_T2_lS3_lPKT0_lS4_lS3_l,comdat
	.globl	_ZN9rocsolver6v33100L22larf_left_kernel_smallILi512EdiPdEEvT1_S3_T2_lS3_lPKT0_lS4_lS3_l ; -- Begin function _ZN9rocsolver6v33100L22larf_left_kernel_smallILi512EdiPdEEvT1_S3_T2_lS3_lPKT0_lS4_lS3_l
	.p2align	8
	.type	_ZN9rocsolver6v33100L22larf_left_kernel_smallILi512EdiPdEEvT1_S3_T2_lS3_lPKT0_lS4_lS3_l,@function
_ZN9rocsolver6v33100L22larf_left_kernel_smallILi512EdiPdEEvT1_S3_T2_lS3_lPKT0_lS4_lS3_l: ; @_ZN9rocsolver6v33100L22larf_left_kernel_smallILi512EdiPdEEvT1_S3_T2_lS3_lPKT0_lS4_lS3_l
; %bb.0:
	s_load_dwordx2 s[16:17], s[0:1], 0x0
	s_load_dwordx8 s[8:15], s[0:1], 0x20
	s_load_dwordx2 s[18:19], s[0:1], 0x40
	s_ashr_i32 s22, s2, 31
	v_lshlrev_b32_e32 v2, 3, v0
	s_waitcnt lgkmcnt(0)
	v_cmp_gt_i32_e64 s[6:7], s16, v0
	s_and_saveexec_b64 s[4:5], s[6:7]
	s_cbranch_execz .LBB3_3
; %bb.1:
	s_load_dwordx4 s[24:27], s[0:1], 0x8
	s_load_dword s20, s[0:1], 0x18
	s_mul_i32 s21, s8, s22
	s_mul_hi_u32 s23, s8, s2
	s_add_i32 s21, s23, s21
	s_mul_i32 s9, s9, s2
	s_add_i32 s9, s21, s9
	s_mul_i32 s8, s8, s2
	s_lshl_b64 s[8:9], s[8:9], 3
	s_waitcnt lgkmcnt(0)
	s_add_u32 s21, s24, s8
	s_addc_u32 s23, s25, s9
	s_lshl_b64 s[8:9], s[26:27], 3
	s_add_u32 s8, s21, s8
	s_addc_u32 s9, s23, s9
	s_sub_i32 s21, 1, s16
	s_mul_i32 s21, s20, s21
	s_cmp_lt_i32 s20, 1
	s_cselect_b32 s21, s21, 0
	v_mul_lo_u32 v1, v0, s20
	v_add_u32_e32 v4, s21, v1
	s_lshl_b32 s23, s20, 9
	v_lshlrev_b32_e32 v1, 3, v0
	s_mov_b64 s[20:21], 0
	v_mov_b32_e32 v3, v0
.LBB3_2:                                ; =>This Inner Loop Header: Depth=1
	v_ashrrev_i32_e32 v5, 31, v4
	v_lshl_add_u64 v[6:7], v[4:5], 3, s[8:9]
	global_load_dwordx2 v[6:7], v[6:7], off
	v_add_u32_e32 v3, 0x200, v3
	v_cmp_le_i32_e32 vcc, s16, v3
	v_add_u32_e32 v4, s23, v4
	s_or_b64 s[20:21], vcc, s[20:21]
	s_waitcnt vmcnt(0)
	ds_write_b64 v1, v[6:7]
	v_add_u32_e32 v1, 0x1000, v1
	s_andn2_b64 exec, exec, s[20:21]
	s_cbranch_execnz .LBB3_2
.LBB3_3:
	s_or_b64 exec, exec, s[4:5]
	s_cmp_ge_i32 s3, s17
	s_waitcnt lgkmcnt(0)
	s_barrier
	s_cbranch_scc1 .LBB3_23
; %bb.4:
	s_load_dword s23, s[0:1], 0x48
	s_load_dwordx2 s[20:21], s[0:1], 0x50
	s_mul_i32 s0, s12, s22
	s_mul_hi_u32 s1, s12, s2
	s_add_i32 s0, s1, s0
	s_mul_i32 s1, s13, s2
	s_add_i32 s1, s0, s1
	s_mul_i32 s0, s12, s2
	s_lshl_b64 s[0:1], s[0:1], 3
	s_add_u32 s8, s10, s0
	s_addc_u32 s9, s11, s1
	s_cmp_gt_i32 s16, 1
	s_waitcnt lgkmcnt(0)
	s_mul_i32 s12, s20, s22
	s_mul_hi_u32 s13, s20, s2
	s_cselect_b64 s[10:11], -1, 0
	s_add_i32 s12, s13, s12
	s_mul_i32 s13, s21, s2
	s_add_i32 s13, s12, s13
	s_mul_i32 s12, s20, s2
	s_lshl_b64 s[12:13], s[12:13], 3
	s_lshl_b64 s[18:19], s[18:19], 3
	s_add_u32 s2, s12, s18
	s_addc_u32 s13, s13, s19
	s_add_u32 s12, s14, s2
	v_mbcnt_lo_u32_b32 v6, -1, 0
	v_and_b32_e32 v1, 63, v0
	v_mov_b32_e32 v3, 0
	s_addc_u32 s13, s15, s13
	v_mbcnt_hi_u32_b32 v17, -1, v6
	v_mov_b32_e32 v6, 0x80
	v_cmp_eq_u32_e64 s[0:1], 0, v1
	v_lshrrev_b32_e32 v1, 3, v0
	v_cmp_eq_u32_e64 s[4:5], 0, v0
	v_lshl_add_u64 v[4:5], s[12:13], 0, v[2:3]
	s_mul_i32 s12, s3, s23
	s_lshl_b32 s2, s23, 6
	s_mov_b64 s[14:15], 0x1000
	v_mov_b32_e32 v14, 0x4008
	v_mov_b32_e32 v15, 0x4018
	;; [unrolled: 1-line block ×3, first 2 shown]
	v_and_b32_e32 v18, 63, v17
	v_lshl_or_b32 v19, v17, 2, v6
	s_branch .LBB3_6
.LBB3_5:                                ;   in Loop: Header=BB3_6 Depth=1
	s_or_b64 exec, exec, s[18:19]
	s_add_i32 s3, s3, 64
	s_add_i32 s12, s12, s2
	s_cmp_ge_i32 s3, s17
	s_cbranch_scc1 .LBB3_23
.LBB3_6:                                ; =>This Loop Header: Depth=1
                                        ;     Child Loop BB3_8 Depth 2
                                        ;     Child Loop BB3_22 Depth 2
	s_ashr_i32 s13, s12, 31
	v_lshl_add_u64 v[6:7], s[12:13], 3, v[4:5]
	v_mov_b64_e32 v[8:9], 0
	s_and_saveexec_b64 s[18:19], s[6:7]
	s_cbranch_execz .LBB3_10
; %bb.7:                                ;   in Loop: Header=BB3_6 Depth=1
	v_mov_b64_e32 v[8:9], 0
	s_mov_b64 s[20:21], 0
	v_mov_b64_e32 v[10:11], v[6:7]
	v_mov_b32_e32 v12, v2
	v_mov_b32_e32 v13, v0
.LBB3_8:                                ;   Parent Loop BB3_6 Depth=1
                                        ; =>  This Inner Loop Header: Depth=2
	global_load_dwordx2 v[20:21], v[10:11], off
	ds_read_b64 v[22:23], v12
	v_add_u32_e32 v13, 0x200, v13
	v_cmp_le_i32_e32 vcc, s16, v13
	v_add_u32_e32 v12, 0x1000, v12
	v_lshl_add_u64 v[10:11], v[10:11], 0, s[14:15]
	s_or_b64 s[20:21], vcc, s[20:21]
	s_waitcnt vmcnt(0) lgkmcnt(0)
	v_fmac_f64_e32 v[8:9], v[22:23], v[20:21]
	s_andn2_b64 exec, exec, s[20:21]
	s_cbranch_execnz .LBB3_8
; %bb.9:                                ;   in Loop: Header=BB3_6 Depth=1
	s_or_b64 exec, exec, s[20:21]
.LBB3_10:                               ;   in Loop: Header=BB3_6 Depth=1
	s_or_b64 exec, exec, s[18:19]
	s_and_b64 vcc, exec, s[10:11]
	s_cbranch_vccz .LBB3_17
; %bb.11:                               ;   in Loop: Header=BB3_6 Depth=1
	v_cmp_ne_u32_e32 vcc, 63, v18
	s_nop 1
	v_addc_co_u32_e32 v10, vcc, 0, v17, vcc
	v_lshlrev_b32_e32 v11, 2, v10
	ds_bpermute_b32 v10, v11, v8
	ds_bpermute_b32 v11, v11, v9
	v_cmp_gt_u32_e32 vcc, 62, v18
	s_waitcnt lgkmcnt(0)
	v_add_f64 v[10:11], v[8:9], v[10:11]
	v_cndmask_b32_e64 v12, 0, 2, vcc
	v_add_lshl_u32 v13, v12, v17, 2
	ds_bpermute_b32 v12, v13, v10
	ds_bpermute_b32 v13, v13, v11
	v_cmp_gt_u32_e32 vcc, 60, v18
	s_waitcnt lgkmcnt(0)
	v_add_f64 v[10:11], v[10:11], v[12:13]
	v_cndmask_b32_e64 v12, 0, 4, vcc
	v_add_lshl_u32 v13, v12, v17, 2
	;; [unrolled: 7-line block ×4, first 2 shown]
	ds_bpermute_b32 v12, v13, v10
	ds_bpermute_b32 v13, v13, v11
	s_waitcnt lgkmcnt(0)
	v_add_f64 v[10:11], v[10:11], v[12:13]
	ds_bpermute_b32 v12, v19, v10
	ds_bpermute_b32 v13, v19, v11
	s_waitcnt lgkmcnt(0)
	v_add_f64 v[10:11], v[10:11], v[12:13]
	s_and_saveexec_b64 s[18:19], s[0:1]
; %bb.12:                               ;   in Loop: Header=BB3_6 Depth=1
	ds_write_b64 v1, v[10:11] offset:16384
; %bb.13:                               ;   in Loop: Header=BB3_6 Depth=1
	s_or_b64 exec, exec, s[18:19]
	s_mov_b64 s[20:21], 0
	s_mov_b64 s[18:19], 0
	s_waitcnt lgkmcnt(0)
	s_barrier
                                        ; implicit-def: $vgpr12_vgpr13
	s_and_saveexec_b64 s[22:23], s[4:5]
	s_xor_b64 s[22:23], exec, s[22:23]
	s_cbranch_execz .LBB3_15
; %bb.14:                               ;   in Loop: Header=BB3_6 Depth=1
	ds_read2_b64 v[20:23], v14 offset1:1
	ds_read2_b64 v[24:27], v15 offset1:1
	;; [unrolled: 1-line block ×3, first 2 shown]
	ds_read_b64 v[12:13], v3 offset:16440
	s_mov_b64 s[18:19], exec
	s_waitcnt lgkmcnt(3)
	v_add_f64 v[10:11], v[10:11], v[20:21]
	v_add_f64 v[10:11], v[10:11], v[22:23]
	s_waitcnt lgkmcnt(2)
	v_add_f64 v[10:11], v[10:11], v[24:25]
	v_add_f64 v[10:11], v[10:11], v[26:27]
	;; [unrolled: 3-line block ×3, first 2 shown]
	s_waitcnt lgkmcnt(0)
	v_add_f64 v[12:13], v[10:11], v[12:13]
.LBB3_15:                               ;   in Loop: Header=BB3_6 Depth=1
	s_or_b64 exec, exec, s[22:23]
	s_and_b64 vcc, exec, s[20:21]
	s_cbranch_vccnz .LBB3_18
.LBB3_16:                               ;   in Loop: Header=BB3_6 Depth=1
	v_mov_b64_e32 v[8:9], v[12:13]
	s_and_saveexec_b64 s[20:21], s[18:19]
	s_cbranch_execnz .LBB3_19
	s_branch .LBB3_20
.LBB3_17:                               ;   in Loop: Header=BB3_6 Depth=1
	s_mov_b64 s[18:19], 0
                                        ; implicit-def: $vgpr12_vgpr13
	s_cbranch_execz .LBB3_16
.LBB3_18:                               ;   in Loop: Header=BB3_6 Depth=1
	s_andn2_b64 s[18:19], s[18:19], exec
	s_and_b64 s[20:21], s[4:5], exec
	s_or_b64 s[18:19], s[18:19], s[20:21]
	s_and_saveexec_b64 s[20:21], s[18:19]
.LBB3_19:                               ;   in Loop: Header=BB3_6 Depth=1
	ds_write_b64 v3, v[8:9] offset:16384
.LBB3_20:                               ;   in Loop: Header=BB3_6 Depth=1
	s_or_b64 exec, exec, s[20:21]
	s_waitcnt lgkmcnt(0)
	s_barrier
	s_and_saveexec_b64 s[18:19], s[6:7]
	s_cbranch_execz .LBB3_5
; %bb.21:                               ;   in Loop: Header=BB3_6 Depth=1
	global_load_dwordx2 v[8:9], v3, s[8:9]
	ds_read_b64 v[12:13], v3 offset:16384
	s_mov_b64 s[20:21], 0
	v_mov_b32_e32 v10, v2
	v_mov_b32_e32 v11, v0
	s_waitcnt vmcnt(0) lgkmcnt(0)
	v_mul_f64 v[8:9], v[12:13], -v[8:9]
.LBB3_22:                               ;   Parent Loop BB3_6 Depth=1
                                        ; =>  This Inner Loop Header: Depth=2
	global_load_dwordx2 v[12:13], v[6:7], off
	ds_read_b64 v[20:21], v10
	v_add_u32_e32 v11, 0x200, v11
	v_cmp_le_i32_e32 vcc, s16, v11
	s_or_b64 s[20:21], vcc, s[20:21]
	v_add_u32_e32 v10, 0x1000, v10
	s_waitcnt vmcnt(0) lgkmcnt(0)
	v_fmac_f64_e32 v[12:13], v[8:9], v[20:21]
	global_store_dwordx2 v[6:7], v[12:13], off
	v_lshl_add_u64 v[6:7], v[6:7], 0, s[14:15]
	s_andn2_b64 exec, exec, s[20:21]
	s_cbranch_execnz .LBB3_22
	s_branch .LBB3_5
.LBB3_23:
	s_endpgm
	.section	.rodata,"a",@progbits
	.p2align	6, 0x0
	.amdhsa_kernel _ZN9rocsolver6v33100L22larf_left_kernel_smallILi512EdiPdEEvT1_S3_T2_lS3_lPKT0_lS4_lS3_l
		.amdhsa_group_segment_fixed_size 20480
		.amdhsa_private_segment_fixed_size 0
		.amdhsa_kernarg_size 88
		.amdhsa_user_sgpr_count 2
		.amdhsa_user_sgpr_dispatch_ptr 0
		.amdhsa_user_sgpr_queue_ptr 0
		.amdhsa_user_sgpr_kernarg_segment_ptr 1
		.amdhsa_user_sgpr_dispatch_id 0
		.amdhsa_user_sgpr_kernarg_preload_length 0
		.amdhsa_user_sgpr_kernarg_preload_offset 0
		.amdhsa_user_sgpr_private_segment_size 0
		.amdhsa_uses_dynamic_stack 0
		.amdhsa_enable_private_segment 0
		.amdhsa_system_sgpr_workgroup_id_x 1
		.amdhsa_system_sgpr_workgroup_id_y 1
		.amdhsa_system_sgpr_workgroup_id_z 0
		.amdhsa_system_sgpr_workgroup_info 0
		.amdhsa_system_vgpr_workitem_id 0
		.amdhsa_next_free_vgpr 32
		.amdhsa_next_free_sgpr 28
		.amdhsa_accum_offset 32
		.amdhsa_reserve_vcc 1
		.amdhsa_float_round_mode_32 0
		.amdhsa_float_round_mode_16_64 0
		.amdhsa_float_denorm_mode_32 3
		.amdhsa_float_denorm_mode_16_64 3
		.amdhsa_dx10_clamp 1
		.amdhsa_ieee_mode 1
		.amdhsa_fp16_overflow 0
		.amdhsa_tg_split 0
		.amdhsa_exception_fp_ieee_invalid_op 0
		.amdhsa_exception_fp_denorm_src 0
		.amdhsa_exception_fp_ieee_div_zero 0
		.amdhsa_exception_fp_ieee_overflow 0
		.amdhsa_exception_fp_ieee_underflow 0
		.amdhsa_exception_fp_ieee_inexact 0
		.amdhsa_exception_int_div_zero 0
	.end_amdhsa_kernel
	.section	.text._ZN9rocsolver6v33100L22larf_left_kernel_smallILi512EdiPdEEvT1_S3_T2_lS3_lPKT0_lS4_lS3_l,"axG",@progbits,_ZN9rocsolver6v33100L22larf_left_kernel_smallILi512EdiPdEEvT1_S3_T2_lS3_lPKT0_lS4_lS3_l,comdat
.Lfunc_end3:
	.size	_ZN9rocsolver6v33100L22larf_left_kernel_smallILi512EdiPdEEvT1_S3_T2_lS3_lPKT0_lS4_lS3_l, .Lfunc_end3-_ZN9rocsolver6v33100L22larf_left_kernel_smallILi512EdiPdEEvT1_S3_T2_lS3_lPKT0_lS4_lS3_l
                                        ; -- End function
	.set _ZN9rocsolver6v33100L22larf_left_kernel_smallILi512EdiPdEEvT1_S3_T2_lS3_lPKT0_lS4_lS3_l.num_vgpr, 32
	.set _ZN9rocsolver6v33100L22larf_left_kernel_smallILi512EdiPdEEvT1_S3_T2_lS3_lPKT0_lS4_lS3_l.num_agpr, 0
	.set _ZN9rocsolver6v33100L22larf_left_kernel_smallILi512EdiPdEEvT1_S3_T2_lS3_lPKT0_lS4_lS3_l.numbered_sgpr, 28
	.set _ZN9rocsolver6v33100L22larf_left_kernel_smallILi512EdiPdEEvT1_S3_T2_lS3_lPKT0_lS4_lS3_l.num_named_barrier, 0
	.set _ZN9rocsolver6v33100L22larf_left_kernel_smallILi512EdiPdEEvT1_S3_T2_lS3_lPKT0_lS4_lS3_l.private_seg_size, 0
	.set _ZN9rocsolver6v33100L22larf_left_kernel_smallILi512EdiPdEEvT1_S3_T2_lS3_lPKT0_lS4_lS3_l.uses_vcc, 1
	.set _ZN9rocsolver6v33100L22larf_left_kernel_smallILi512EdiPdEEvT1_S3_T2_lS3_lPKT0_lS4_lS3_l.uses_flat_scratch, 0
	.set _ZN9rocsolver6v33100L22larf_left_kernel_smallILi512EdiPdEEvT1_S3_T2_lS3_lPKT0_lS4_lS3_l.has_dyn_sized_stack, 0
	.set _ZN9rocsolver6v33100L22larf_left_kernel_smallILi512EdiPdEEvT1_S3_T2_lS3_lPKT0_lS4_lS3_l.has_recursion, 0
	.set _ZN9rocsolver6v33100L22larf_left_kernel_smallILi512EdiPdEEvT1_S3_T2_lS3_lPKT0_lS4_lS3_l.has_indirect_call, 0
	.section	.AMDGPU.csdata,"",@progbits
; Kernel info:
; codeLenInByte = 1240
; TotalNumSgprs: 34
; NumVgprs: 32
; NumAgprs: 0
; TotalNumVgprs: 32
; ScratchSize: 0
; MemoryBound: 0
; FloatMode: 240
; IeeeMode: 1
; LDSByteSize: 20480 bytes/workgroup (compile time only)
; SGPRBlocks: 4
; VGPRBlocks: 3
; NumSGPRsForWavesPerEU: 34
; NumVGPRsForWavesPerEU: 32
; AccumOffset: 32
; Occupancy: 8
; WaveLimiterHint : 0
; COMPUTE_PGM_RSRC2:SCRATCH_EN: 0
; COMPUTE_PGM_RSRC2:USER_SGPR: 2
; COMPUTE_PGM_RSRC2:TRAP_HANDLER: 0
; COMPUTE_PGM_RSRC2:TGID_X_EN: 1
; COMPUTE_PGM_RSRC2:TGID_Y_EN: 1
; COMPUTE_PGM_RSRC2:TGID_Z_EN: 0
; COMPUTE_PGM_RSRC2:TIDIG_COMP_CNT: 0
; COMPUTE_PGM_RSRC3_GFX90A:ACCUM_OFFSET: 7
; COMPUTE_PGM_RSRC3_GFX90A:TG_SPLIT: 0
	.section	.text._ZN9rocsolver6v33100L22larf_left_kernel_smallILi1024EdiPdEEvT1_S3_T2_lS3_lPKT0_lS4_lS3_l,"axG",@progbits,_ZN9rocsolver6v33100L22larf_left_kernel_smallILi1024EdiPdEEvT1_S3_T2_lS3_lPKT0_lS4_lS3_l,comdat
	.globl	_ZN9rocsolver6v33100L22larf_left_kernel_smallILi1024EdiPdEEvT1_S3_T2_lS3_lPKT0_lS4_lS3_l ; -- Begin function _ZN9rocsolver6v33100L22larf_left_kernel_smallILi1024EdiPdEEvT1_S3_T2_lS3_lPKT0_lS4_lS3_l
	.p2align	8
	.type	_ZN9rocsolver6v33100L22larf_left_kernel_smallILi1024EdiPdEEvT1_S3_T2_lS3_lPKT0_lS4_lS3_l,@function
_ZN9rocsolver6v33100L22larf_left_kernel_smallILi1024EdiPdEEvT1_S3_T2_lS3_lPKT0_lS4_lS3_l: ; @_ZN9rocsolver6v33100L22larf_left_kernel_smallILi1024EdiPdEEvT1_S3_T2_lS3_lPKT0_lS4_lS3_l
; %bb.0:
	s_load_dwordx2 s[16:17], s[0:1], 0x0
	s_load_dwordx8 s[8:15], s[0:1], 0x20
	s_load_dwordx2 s[18:19], s[0:1], 0x40
	s_ashr_i32 s22, s2, 31
	v_lshlrev_b32_e32 v2, 3, v0
	s_waitcnt lgkmcnt(0)
	v_cmp_gt_i32_e64 s[6:7], s16, v0
	s_and_saveexec_b64 s[4:5], s[6:7]
	s_cbranch_execz .LBB4_3
; %bb.1:
	s_load_dwordx4 s[24:27], s[0:1], 0x8
	s_load_dword s20, s[0:1], 0x18
	s_mul_i32 s21, s8, s22
	s_mul_hi_u32 s23, s8, s2
	s_add_i32 s21, s23, s21
	s_mul_i32 s9, s9, s2
	s_add_i32 s9, s21, s9
	s_mul_i32 s8, s8, s2
	s_lshl_b64 s[8:9], s[8:9], 3
	s_waitcnt lgkmcnt(0)
	s_add_u32 s21, s24, s8
	s_addc_u32 s23, s25, s9
	s_lshl_b64 s[8:9], s[26:27], 3
	s_add_u32 s8, s21, s8
	s_addc_u32 s9, s23, s9
	s_sub_i32 s21, 1, s16
	s_mul_i32 s21, s20, s21
	s_cmp_lt_i32 s20, 1
	s_cselect_b32 s21, s21, 0
	v_mul_lo_u32 v1, v0, s20
	v_add_u32_e32 v4, s21, v1
	s_lshl_b32 s23, s20, 10
	v_lshlrev_b32_e32 v1, 3, v0
	s_mov_b64 s[20:21], 0
	v_mov_b32_e32 v3, v0
.LBB4_2:                                ; =>This Inner Loop Header: Depth=1
	v_ashrrev_i32_e32 v5, 31, v4
	v_lshl_add_u64 v[6:7], v[4:5], 3, s[8:9]
	global_load_dwordx2 v[6:7], v[6:7], off
	v_add_u32_e32 v3, 0x400, v3
	v_cmp_le_i32_e32 vcc, s16, v3
	v_add_u32_e32 v4, s23, v4
	s_or_b64 s[20:21], vcc, s[20:21]
	s_waitcnt vmcnt(0)
	ds_write_b64 v1, v[6:7]
	v_add_u32_e32 v1, 0x2000, v1
	s_andn2_b64 exec, exec, s[20:21]
	s_cbranch_execnz .LBB4_2
.LBB4_3:
	s_or_b64 exec, exec, s[4:5]
	s_cmp_ge_i32 s3, s17
	s_waitcnt lgkmcnt(0)
	s_barrier
	s_cbranch_scc1 .LBB4_23
; %bb.4:
	s_load_dword s23, s[0:1], 0x48
	s_load_dwordx2 s[20:21], s[0:1], 0x50
	s_mul_i32 s0, s12, s22
	s_mul_hi_u32 s1, s12, s2
	s_add_i32 s0, s1, s0
	s_mul_i32 s1, s13, s2
	s_add_i32 s1, s0, s1
	s_mul_i32 s0, s12, s2
	s_lshl_b64 s[0:1], s[0:1], 3
	s_add_u32 s8, s10, s0
	s_addc_u32 s9, s11, s1
	s_cmp_gt_i32 s16, 1
	s_waitcnt lgkmcnt(0)
	s_mul_i32 s12, s20, s22
	s_mul_hi_u32 s13, s20, s2
	s_cselect_b64 s[10:11], -1, 0
	s_add_i32 s12, s13, s12
	s_mul_i32 s13, s21, s2
	s_add_i32 s13, s12, s13
	s_mul_i32 s12, s20, s2
	s_lshl_b64 s[12:13], s[12:13], 3
	s_lshl_b64 s[18:19], s[18:19], 3
	s_add_u32 s2, s12, s18
	s_addc_u32 s13, s13, s19
	s_add_u32 s12, s14, s2
	v_mbcnt_lo_u32_b32 v6, -1, 0
	v_and_b32_e32 v1, 63, v0
	v_mov_b32_e32 v3, 0
	s_addc_u32 s13, s15, s13
	v_mbcnt_hi_u32_b32 v21, -1, v6
	v_mov_b32_e32 v6, 0x80
	v_cmp_eq_u32_e64 s[0:1], 0, v1
	v_lshrrev_b32_e32 v1, 3, v0
	v_cmp_eq_u32_e64 s[4:5], 0, v0
	v_lshl_add_u64 v[4:5], s[12:13], 0, v[2:3]
	s_mul_i32 s12, s3, s23
	s_lshl_b32 s2, s23, 6
	s_mov_b64 s[14:15], 0x2000
	v_mov_b32_e32 v14, 0x4008
	v_mov_b32_e32 v15, 0x4018
	;; [unrolled: 1-line block ×7, first 2 shown]
	v_and_b32_e32 v22, 63, v21
	v_lshl_or_b32 v23, v21, 2, v6
	s_branch .LBB4_6
.LBB4_5:                                ;   in Loop: Header=BB4_6 Depth=1
	s_or_b64 exec, exec, s[18:19]
	s_add_i32 s3, s3, 64
	s_add_i32 s12, s12, s2
	s_cmp_ge_i32 s3, s17
	s_cbranch_scc1 .LBB4_23
.LBB4_6:                                ; =>This Loop Header: Depth=1
                                        ;     Child Loop BB4_8 Depth 2
                                        ;     Child Loop BB4_22 Depth 2
	s_ashr_i32 s13, s12, 31
	v_lshl_add_u64 v[6:7], s[12:13], 3, v[4:5]
	v_mov_b64_e32 v[8:9], 0
	s_and_saveexec_b64 s[18:19], s[6:7]
	s_cbranch_execz .LBB4_10
; %bb.7:                                ;   in Loop: Header=BB4_6 Depth=1
	v_mov_b64_e32 v[8:9], 0
	s_mov_b64 s[20:21], 0
	v_mov_b64_e32 v[10:11], v[6:7]
	v_mov_b32_e32 v12, v2
	v_mov_b32_e32 v13, v0
.LBB4_8:                                ;   Parent Loop BB4_6 Depth=1
                                        ; =>  This Inner Loop Header: Depth=2
	global_load_dwordx2 v[24:25], v[10:11], off
	ds_read_b64 v[26:27], v12
	v_add_u32_e32 v13, 0x400, v13
	v_cmp_le_i32_e32 vcc, s16, v13
	v_add_u32_e32 v12, 0x2000, v12
	v_lshl_add_u64 v[10:11], v[10:11], 0, s[14:15]
	s_or_b64 s[20:21], vcc, s[20:21]
	s_waitcnt vmcnt(0) lgkmcnt(0)
	v_fmac_f64_e32 v[8:9], v[26:27], v[24:25]
	s_andn2_b64 exec, exec, s[20:21]
	s_cbranch_execnz .LBB4_8
; %bb.9:                                ;   in Loop: Header=BB4_6 Depth=1
	s_or_b64 exec, exec, s[20:21]
.LBB4_10:                               ;   in Loop: Header=BB4_6 Depth=1
	s_or_b64 exec, exec, s[18:19]
	s_and_b64 vcc, exec, s[10:11]
	s_cbranch_vccz .LBB4_17
; %bb.11:                               ;   in Loop: Header=BB4_6 Depth=1
	v_cmp_ne_u32_e32 vcc, 63, v22
	s_nop 1
	v_addc_co_u32_e32 v10, vcc, 0, v21, vcc
	v_lshlrev_b32_e32 v11, 2, v10
	ds_bpermute_b32 v10, v11, v8
	ds_bpermute_b32 v11, v11, v9
	v_cmp_gt_u32_e32 vcc, 62, v22
	s_waitcnt lgkmcnt(0)
	v_add_f64 v[10:11], v[8:9], v[10:11]
	v_cndmask_b32_e64 v12, 0, 2, vcc
	v_add_lshl_u32 v13, v12, v21, 2
	ds_bpermute_b32 v12, v13, v10
	ds_bpermute_b32 v13, v13, v11
	v_cmp_gt_u32_e32 vcc, 60, v22
	s_waitcnt lgkmcnt(0)
	v_add_f64 v[10:11], v[10:11], v[12:13]
	v_cndmask_b32_e64 v12, 0, 4, vcc
	v_add_lshl_u32 v13, v12, v21, 2
	;; [unrolled: 7-line block ×4, first 2 shown]
	ds_bpermute_b32 v12, v13, v10
	ds_bpermute_b32 v13, v13, v11
	s_waitcnt lgkmcnt(0)
	v_add_f64 v[10:11], v[10:11], v[12:13]
	ds_bpermute_b32 v12, v23, v10
	ds_bpermute_b32 v13, v23, v11
	s_waitcnt lgkmcnt(0)
	v_add_f64 v[10:11], v[10:11], v[12:13]
	s_and_saveexec_b64 s[18:19], s[0:1]
; %bb.12:                               ;   in Loop: Header=BB4_6 Depth=1
	ds_write_b64 v1, v[10:11] offset:16384
; %bb.13:                               ;   in Loop: Header=BB4_6 Depth=1
	s_or_b64 exec, exec, s[18:19]
	s_mov_b64 s[20:21], 0
	s_mov_b64 s[18:19], 0
	s_waitcnt lgkmcnt(0)
	s_barrier
                                        ; implicit-def: $vgpr12_vgpr13
	s_and_saveexec_b64 s[22:23], s[4:5]
	s_xor_b64 s[22:23], exec, s[22:23]
	s_cbranch_execz .LBB4_15
; %bb.14:                               ;   in Loop: Header=BB4_6 Depth=1
	ds_read2_b64 v[24:27], v14 offset1:1
	ds_read2_b64 v[28:31], v15 offset1:1
	;; [unrolled: 1-line block ×4, first 2 shown]
	s_mov_b64 s[18:19], exec
	s_waitcnt lgkmcnt(3)
	v_add_f64 v[10:11], v[10:11], v[24:25]
	v_add_f64 v[10:11], v[10:11], v[26:27]
	s_waitcnt lgkmcnt(2)
	v_add_f64 v[10:11], v[10:11], v[28:29]
	v_add_f64 v[10:11], v[10:11], v[30:31]
	s_waitcnt lgkmcnt(1)
	v_add_f64 v[24:25], v[10:11], v[32:33]
	ds_read2_b64 v[10:13], v18 offset1:1
	v_add_f64 v[24:25], v[24:25], v[34:35]
	s_waitcnt lgkmcnt(1)
	v_add_f64 v[24:25], v[24:25], v[36:37]
	v_add_f64 v[28:29], v[24:25], v[38:39]
	ds_read2_b64 v[24:27], v19 offset1:1
	s_waitcnt lgkmcnt(1)
	v_add_f64 v[10:11], v[28:29], v[10:11]
	ds_read2_b64 v[28:31], v20 offset1:1
	v_add_f64 v[10:11], v[10:11], v[12:13]
	ds_read_b64 v[12:13], v3 offset:16504
	s_waitcnt lgkmcnt(2)
	v_add_f64 v[10:11], v[10:11], v[24:25]
	v_add_f64 v[10:11], v[10:11], v[26:27]
	s_waitcnt lgkmcnt(1)
	v_add_f64 v[10:11], v[10:11], v[28:29]
	v_add_f64 v[10:11], v[10:11], v[30:31]
	s_waitcnt lgkmcnt(0)
	v_add_f64 v[12:13], v[10:11], v[12:13]
.LBB4_15:                               ;   in Loop: Header=BB4_6 Depth=1
	s_or_b64 exec, exec, s[22:23]
	s_and_b64 vcc, exec, s[20:21]
	s_cbranch_vccnz .LBB4_18
.LBB4_16:                               ;   in Loop: Header=BB4_6 Depth=1
	v_mov_b64_e32 v[8:9], v[12:13]
	s_and_saveexec_b64 s[20:21], s[18:19]
	s_cbranch_execnz .LBB4_19
	s_branch .LBB4_20
.LBB4_17:                               ;   in Loop: Header=BB4_6 Depth=1
	s_mov_b64 s[18:19], 0
                                        ; implicit-def: $vgpr12_vgpr13
	s_cbranch_execz .LBB4_16
.LBB4_18:                               ;   in Loop: Header=BB4_6 Depth=1
	s_andn2_b64 s[18:19], s[18:19], exec
	s_and_b64 s[20:21], s[4:5], exec
	s_or_b64 s[18:19], s[18:19], s[20:21]
	s_and_saveexec_b64 s[20:21], s[18:19]
.LBB4_19:                               ;   in Loop: Header=BB4_6 Depth=1
	ds_write_b64 v3, v[8:9] offset:16384
.LBB4_20:                               ;   in Loop: Header=BB4_6 Depth=1
	s_or_b64 exec, exec, s[20:21]
	s_waitcnt lgkmcnt(0)
	s_barrier
	s_and_saveexec_b64 s[18:19], s[6:7]
	s_cbranch_execz .LBB4_5
; %bb.21:                               ;   in Loop: Header=BB4_6 Depth=1
	global_load_dwordx2 v[8:9], v3, s[8:9]
	ds_read_b64 v[12:13], v3 offset:16384
	s_mov_b64 s[20:21], 0
	v_mov_b32_e32 v10, v2
	v_mov_b32_e32 v11, v0
	s_waitcnt vmcnt(0) lgkmcnt(0)
	v_mul_f64 v[8:9], v[12:13], -v[8:9]
.LBB4_22:                               ;   Parent Loop BB4_6 Depth=1
                                        ; =>  This Inner Loop Header: Depth=2
	global_load_dwordx2 v[12:13], v[6:7], off
	ds_read_b64 v[24:25], v10
	v_add_u32_e32 v11, 0x400, v11
	v_cmp_le_i32_e32 vcc, s16, v11
	s_or_b64 s[20:21], vcc, s[20:21]
	v_add_u32_e32 v10, 0x2000, v10
	s_waitcnt vmcnt(0) lgkmcnt(0)
	v_fmac_f64_e32 v[12:13], v[8:9], v[24:25]
	global_store_dwordx2 v[6:7], v[12:13], off
	v_lshl_add_u64 v[6:7], v[6:7], 0, s[14:15]
	s_andn2_b64 exec, exec, s[20:21]
	s_cbranch_execnz .LBB4_22
	s_branch .LBB4_5
.LBB4_23:
	s_endpgm
	.section	.rodata,"a",@progbits
	.p2align	6, 0x0
	.amdhsa_kernel _ZN9rocsolver6v33100L22larf_left_kernel_smallILi1024EdiPdEEvT1_S3_T2_lS3_lPKT0_lS4_lS3_l
		.amdhsa_group_segment_fixed_size 24576
		.amdhsa_private_segment_fixed_size 0
		.amdhsa_kernarg_size 88
		.amdhsa_user_sgpr_count 2
		.amdhsa_user_sgpr_dispatch_ptr 0
		.amdhsa_user_sgpr_queue_ptr 0
		.amdhsa_user_sgpr_kernarg_segment_ptr 1
		.amdhsa_user_sgpr_dispatch_id 0
		.amdhsa_user_sgpr_kernarg_preload_length 0
		.amdhsa_user_sgpr_kernarg_preload_offset 0
		.amdhsa_user_sgpr_private_segment_size 0
		.amdhsa_uses_dynamic_stack 0
		.amdhsa_enable_private_segment 0
		.amdhsa_system_sgpr_workgroup_id_x 1
		.amdhsa_system_sgpr_workgroup_id_y 1
		.amdhsa_system_sgpr_workgroup_id_z 0
		.amdhsa_system_sgpr_workgroup_info 0
		.amdhsa_system_vgpr_workitem_id 0
		.amdhsa_next_free_vgpr 40
		.amdhsa_next_free_sgpr 28
		.amdhsa_accum_offset 40
		.amdhsa_reserve_vcc 1
		.amdhsa_float_round_mode_32 0
		.amdhsa_float_round_mode_16_64 0
		.amdhsa_float_denorm_mode_32 3
		.amdhsa_float_denorm_mode_16_64 3
		.amdhsa_dx10_clamp 1
		.amdhsa_ieee_mode 1
		.amdhsa_fp16_overflow 0
		.amdhsa_tg_split 0
		.amdhsa_exception_fp_ieee_invalid_op 0
		.amdhsa_exception_fp_denorm_src 0
		.amdhsa_exception_fp_ieee_div_zero 0
		.amdhsa_exception_fp_ieee_overflow 0
		.amdhsa_exception_fp_ieee_underflow 0
		.amdhsa_exception_fp_ieee_inexact 0
		.amdhsa_exception_int_div_zero 0
	.end_amdhsa_kernel
	.section	.text._ZN9rocsolver6v33100L22larf_left_kernel_smallILi1024EdiPdEEvT1_S3_T2_lS3_lPKT0_lS4_lS3_l,"axG",@progbits,_ZN9rocsolver6v33100L22larf_left_kernel_smallILi1024EdiPdEEvT1_S3_T2_lS3_lPKT0_lS4_lS3_l,comdat
.Lfunc_end4:
	.size	_ZN9rocsolver6v33100L22larf_left_kernel_smallILi1024EdiPdEEvT1_S3_T2_lS3_lPKT0_lS4_lS3_l, .Lfunc_end4-_ZN9rocsolver6v33100L22larf_left_kernel_smallILi1024EdiPdEEvT1_S3_T2_lS3_lPKT0_lS4_lS3_l
                                        ; -- End function
	.set _ZN9rocsolver6v33100L22larf_left_kernel_smallILi1024EdiPdEEvT1_S3_T2_lS3_lPKT0_lS4_lS3_l.num_vgpr, 40
	.set _ZN9rocsolver6v33100L22larf_left_kernel_smallILi1024EdiPdEEvT1_S3_T2_lS3_lPKT0_lS4_lS3_l.num_agpr, 0
	.set _ZN9rocsolver6v33100L22larf_left_kernel_smallILi1024EdiPdEEvT1_S3_T2_lS3_lPKT0_lS4_lS3_l.numbered_sgpr, 28
	.set _ZN9rocsolver6v33100L22larf_left_kernel_smallILi1024EdiPdEEvT1_S3_T2_lS3_lPKT0_lS4_lS3_l.num_named_barrier, 0
	.set _ZN9rocsolver6v33100L22larf_left_kernel_smallILi1024EdiPdEEvT1_S3_T2_lS3_lPKT0_lS4_lS3_l.private_seg_size, 0
	.set _ZN9rocsolver6v33100L22larf_left_kernel_smallILi1024EdiPdEEvT1_S3_T2_lS3_lPKT0_lS4_lS3_l.uses_vcc, 1
	.set _ZN9rocsolver6v33100L22larf_left_kernel_smallILi1024EdiPdEEvT1_S3_T2_lS3_lPKT0_lS4_lS3_l.uses_flat_scratch, 0
	.set _ZN9rocsolver6v33100L22larf_left_kernel_smallILi1024EdiPdEEvT1_S3_T2_lS3_lPKT0_lS4_lS3_l.has_dyn_sized_stack, 0
	.set _ZN9rocsolver6v33100L22larf_left_kernel_smallILi1024EdiPdEEvT1_S3_T2_lS3_lPKT0_lS4_lS3_l.has_recursion, 0
	.set _ZN9rocsolver6v33100L22larf_left_kernel_smallILi1024EdiPdEEvT1_S3_T2_lS3_lPKT0_lS4_lS3_l.has_indirect_call, 0
	.section	.AMDGPU.csdata,"",@progbits
; Kernel info:
; codeLenInByte = 1384
; TotalNumSgprs: 34
; NumVgprs: 40
; NumAgprs: 0
; TotalNumVgprs: 40
; ScratchSize: 0
; MemoryBound: 0
; FloatMode: 240
; IeeeMode: 1
; LDSByteSize: 24576 bytes/workgroup (compile time only)
; SGPRBlocks: 4
; VGPRBlocks: 4
; NumSGPRsForWavesPerEU: 34
; NumVGPRsForWavesPerEU: 40
; AccumOffset: 40
; Occupancy: 8
; WaveLimiterHint : 0
; COMPUTE_PGM_RSRC2:SCRATCH_EN: 0
; COMPUTE_PGM_RSRC2:USER_SGPR: 2
; COMPUTE_PGM_RSRC2:TRAP_HANDLER: 0
; COMPUTE_PGM_RSRC2:TGID_X_EN: 1
; COMPUTE_PGM_RSRC2:TGID_Y_EN: 1
; COMPUTE_PGM_RSRC2:TGID_Z_EN: 0
; COMPUTE_PGM_RSRC2:TIDIG_COMP_CNT: 0
; COMPUTE_PGM_RSRC3_GFX90A:ACCUM_OFFSET: 9
; COMPUTE_PGM_RSRC3_GFX90A:TG_SPLIT: 0
	.section	.text._ZN9rocsolver6v33100L23larf_right_kernel_smallILi64EdiPdEEvT1_S3_T2_lS3_lPKT0_lS4_lS3_l,"axG",@progbits,_ZN9rocsolver6v33100L23larf_right_kernel_smallILi64EdiPdEEvT1_S3_T2_lS3_lPKT0_lS4_lS3_l,comdat
	.globl	_ZN9rocsolver6v33100L23larf_right_kernel_smallILi64EdiPdEEvT1_S3_T2_lS3_lPKT0_lS4_lS3_l ; -- Begin function _ZN9rocsolver6v33100L23larf_right_kernel_smallILi64EdiPdEEvT1_S3_T2_lS3_lPKT0_lS4_lS3_l
	.p2align	8
	.type	_ZN9rocsolver6v33100L23larf_right_kernel_smallILi64EdiPdEEvT1_S3_T2_lS3_lPKT0_lS4_lS3_l,@function
_ZN9rocsolver6v33100L23larf_right_kernel_smallILi64EdiPdEEvT1_S3_T2_lS3_lPKT0_lS4_lS3_l: ; @_ZN9rocsolver6v33100L23larf_right_kernel_smallILi64EdiPdEEvT1_S3_T2_lS3_lPKT0_lS4_lS3_l
; %bb.0:
	s_load_dwordx2 s[16:17], s[0:1], 0x0
	s_load_dwordx8 s[8:15], s[0:1], 0x20
	s_load_dwordx2 s[18:19], s[0:1], 0x40
	s_mov_b32 s6, s3
	s_ashr_i32 s3, s2, 31
	s_waitcnt lgkmcnt(0)
	v_cmp_gt_i32_e64 s[4:5], s17, v0
	v_lshlrev_b32_e32 v1, 3, v0
	s_and_saveexec_b64 s[20:21], s[4:5]
	s_cbranch_execz .LBB5_3
; %bb.1:
	s_load_dwordx4 s[24:27], s[0:1], 0x8
	s_load_dword s7, s[0:1], 0x18
	s_mul_i32 s22, s8, s3
	s_mul_hi_u32 s23, s8, s2
	s_add_i32 s22, s23, s22
	s_mul_i32 s9, s9, s2
	s_add_i32 s9, s22, s9
	s_mul_i32 s8, s8, s2
	s_lshl_b64 s[8:9], s[8:9], 3
	s_waitcnt lgkmcnt(0)
	s_add_u32 s22, s24, s8
	s_addc_u32 s23, s25, s9
	s_lshl_b64 s[8:9], s[26:27], 3
	s_add_u32 s8, s22, s8
	s_addc_u32 s9, s23, s9
	s_sub_i32 s22, 1, s17
	s_mul_i32 s22, s7, s22
	s_cmp_lt_i32 s7, 1
	s_cselect_b32 s22, s22, 0
	v_mul_lo_u32 v2, v0, s7
	v_add_u32_e32 v2, s22, v2
	s_lshl_b32 s7, s7, 6
	v_lshlrev_b32_e32 v4, 3, v0
	s_mov_b64 s[22:23], 0
	v_mov_b32_e32 v5, v0
.LBB5_2:                                ; =>This Inner Loop Header: Depth=1
	v_ashrrev_i32_e32 v3, 31, v2
	v_lshl_add_u64 v[6:7], v[2:3], 3, s[8:9]
	global_load_dwordx2 v[6:7], v[6:7], off
	v_add_u32_e32 v5, 64, v5
	v_cmp_le_i32_e32 vcc, s17, v5
	v_add_u32_e32 v2, s7, v2
	s_or_b64 s[22:23], vcc, s[22:23]
	s_waitcnt vmcnt(0)
	ds_write_b64 v4, v[6:7]
	v_add_u32_e32 v4, 0x200, v4
	s_andn2_b64 exec, exec, s[22:23]
	s_cbranch_execnz .LBB5_2
.LBB5_3:
	s_or_b64 exec, exec, s[20:21]
	s_cmp_ge_i32 s6, s16
	s_waitcnt lgkmcnt(0)
	; wave barrier
	s_cbranch_scc1 .LBB5_21
; %bb.4:
	s_load_dwordx2 s[8:9], s[0:1], 0x50
	s_load_dword s7, s[0:1], 0x48
	v_mbcnt_lo_u32_b32 v2, -1, 0
	v_mbcnt_hi_u32_b32 v9, -1, v2
	v_mov_b32_e32 v2, 0x80
	s_waitcnt lgkmcnt(0)
	s_mul_i32 s1, s8, s3
	s_mul_hi_u32 s20, s8, s2
	s_mul_i32 s9, s9, s2
	s_add_i32 s1, s20, s1
	s_mul_i32 s0, s8, s2
	s_add_i32 s1, s1, s9
	s_lshl_b64 s[0:1], s[0:1], 3
	s_add_u32 s8, s14, s0
	s_addc_u32 s9, s15, s1
	s_lshl_b64 s[0:1], s[18:19], 3
	s_add_u32 s18, s8, s0
	s_addc_u32 s19, s9, s1
	s_mul_i32 s0, s12, s3
	s_mul_hi_u32 s1, s12, s2
	s_add_i32 s0, s1, s0
	s_mul_i32 s1, s13, s2
	s_add_i32 s1, s0, s1
	s_mul_i32 s0, s12, s2
	s_lshl_b64 s[0:1], s[0:1], 3
	s_add_u32 s0, s10, s0
	s_addc_u32 s1, s11, s1
	s_cmp_gt_i32 s17, 1
	s_cselect_b64 s[2:3], -1, 0
	v_cmp_eq_u32_e64 s[8:9], 0, v0
	v_lshrrev_b32_e32 v6, 3, v0
	v_mul_lo_u32 v7, v0, s7
	s_lshl_b32 s20, s7, 6
	v_mov_b32_e32 v8, 0
	v_and_b32_e32 v10, 63, v9
	v_lshl_or_b32 v11, v9, 2, v2
	s_branch .LBB5_6
.LBB5_5:                                ;   in Loop: Header=BB5_6 Depth=1
	s_or_b64 exec, exec, s[12:13]
	s_add_i32 s6, s6, 64
	s_cmp_ge_i32 s6, s16
	s_cbranch_scc1 .LBB5_21
.LBB5_6:                                ; =>This Loop Header: Depth=1
                                        ;     Child Loop BB5_8 Depth 2
                                        ;     Child Loop BB5_20 Depth 2
	s_ashr_i32 s7, s6, 31
	s_lshl_b64 s[10:11], s[6:7], 3
	s_add_u32 s10, s18, s10
	s_addc_u32 s11, s19, s11
	v_mov_b64_e32 v[2:3], 0
	s_and_saveexec_b64 s[12:13], s[4:5]
	s_cbranch_execz .LBB5_10
; %bb.7:                                ;   in Loop: Header=BB5_6 Depth=1
	v_mov_b64_e32 v[2:3], 0
	s_mov_b64 s[14:15], 0
	v_mov_b32_e32 v4, v7
	v_mov_b32_e32 v12, v1
	;; [unrolled: 1-line block ×3, first 2 shown]
.LBB5_8:                                ;   Parent Loop BB5_6 Depth=1
                                        ; =>  This Inner Loop Header: Depth=2
	v_ashrrev_i32_e32 v5, 31, v4
	v_lshl_add_u64 v[14:15], v[4:5], 3, s[10:11]
	global_load_dwordx2 v[14:15], v[14:15], off
	ds_read_b64 v[16:17], v12
	v_add_u32_e32 v13, 64, v13
	v_cmp_le_i32_e32 vcc, s17, v13
	v_add_u32_e32 v12, 0x200, v12
	v_add_u32_e32 v4, s20, v4
	s_or_b64 s[14:15], vcc, s[14:15]
	s_waitcnt vmcnt(0) lgkmcnt(0)
	v_fmac_f64_e32 v[2:3], v[16:17], v[14:15]
	s_andn2_b64 exec, exec, s[14:15]
	s_cbranch_execnz .LBB5_8
; %bb.9:                                ;   in Loop: Header=BB5_6 Depth=1
	s_or_b64 exec, exec, s[14:15]
.LBB5_10:                               ;   in Loop: Header=BB5_6 Depth=1
	s_or_b64 exec, exec, s[12:13]
	s_and_b64 vcc, exec, s[2:3]
	s_cbranch_vccz .LBB5_15
; %bb.11:                               ;   in Loop: Header=BB5_6 Depth=1
	v_cmp_ne_u32_e32 vcc, 63, v10
	s_nop 1
	v_addc_co_u32_e32 v4, vcc, 0, v9, vcc
	v_lshlrev_b32_e32 v5, 2, v4
	ds_bpermute_b32 v4, v5, v2
	ds_bpermute_b32 v5, v5, v3
	v_cmp_gt_u32_e32 vcc, 62, v10
	s_waitcnt lgkmcnt(0)
	v_add_f64 v[4:5], v[2:3], v[4:5]
	v_cndmask_b32_e64 v12, 0, 2, vcc
	v_add_lshl_u32 v13, v12, v9, 2
	ds_bpermute_b32 v12, v13, v4
	ds_bpermute_b32 v13, v13, v5
	v_cmp_gt_u32_e32 vcc, 60, v10
	s_waitcnt lgkmcnt(0)
	v_add_f64 v[4:5], v[4:5], v[12:13]
	v_cndmask_b32_e64 v12, 0, 4, vcc
	v_add_lshl_u32 v13, v12, v9, 2
	;; [unrolled: 7-line block ×4, first 2 shown]
	ds_bpermute_b32 v12, v13, v4
	ds_bpermute_b32 v13, v13, v5
	s_waitcnt lgkmcnt(0)
	v_add_f64 v[4:5], v[4:5], v[12:13]
	ds_bpermute_b32 v12, v11, v4
	ds_bpermute_b32 v13, v11, v5
	s_waitcnt lgkmcnt(0)
	v_add_f64 v[4:5], v[4:5], v[12:13]
	s_and_saveexec_b64 s[12:13], s[8:9]
; %bb.12:                               ;   in Loop: Header=BB5_6 Depth=1
	ds_write_b64 v6, v[4:5] offset:16384
; %bb.13:                               ;   in Loop: Header=BB5_6 Depth=1
	s_or_b64 exec, exec, s[12:13]
	s_waitcnt lgkmcnt(0)
	; wave barrier
	s_mov_b64 s[12:13], s[8:9]
.LBB5_14:                               ;   in Loop: Header=BB5_6 Depth=1
	v_mov_b64_e32 v[2:3], v[4:5]
	s_and_saveexec_b64 s[14:15], s[12:13]
	s_cbranch_execnz .LBB5_17
	s_branch .LBB5_18
.LBB5_15:                               ;   in Loop: Header=BB5_6 Depth=1
	s_mov_b64 s[12:13], 0
                                        ; implicit-def: $vgpr4_vgpr5
	s_cbranch_execz .LBB5_14
; %bb.16:                               ;   in Loop: Header=BB5_6 Depth=1
	s_andn2_b64 s[12:13], s[12:13], exec
	s_and_b64 s[14:15], s[8:9], exec
	s_or_b64 s[12:13], s[12:13], s[14:15]
	s_and_saveexec_b64 s[14:15], s[12:13]
.LBB5_17:                               ;   in Loop: Header=BB5_6 Depth=1
	ds_write_b64 v8, v[2:3] offset:16384
.LBB5_18:                               ;   in Loop: Header=BB5_6 Depth=1
	s_or_b64 exec, exec, s[14:15]
	s_waitcnt lgkmcnt(0)
	; wave barrier
	s_and_saveexec_b64 s[12:13], s[4:5]
	s_cbranch_execz .LBB5_5
; %bb.19:                               ;   in Loop: Header=BB5_6 Depth=1
	global_load_dwordx2 v[4:5], v8, s[0:1]
	ds_read_b64 v[14:15], v8 offset:16384
	s_mov_b64 s[14:15], 0
	v_mov_b32_e32 v12, v1
	v_mov_b32_e32 v2, v7
	;; [unrolled: 1-line block ×3, first 2 shown]
	s_waitcnt vmcnt(0) lgkmcnt(0)
	v_mul_f64 v[4:5], v[14:15], -v[4:5]
.LBB5_20:                               ;   Parent Loop BB5_6 Depth=1
                                        ; =>  This Inner Loop Header: Depth=2
	v_ashrrev_i32_e32 v3, 31, v2
	v_lshl_add_u64 v[14:15], v[2:3], 3, s[10:11]
	global_load_dwordx2 v[16:17], v[14:15], off
	ds_read_b64 v[18:19], v12
	v_add_u32_e32 v13, 64, v13
	v_cmp_le_i32_e32 vcc, s17, v13
	v_add_u32_e32 v12, 0x200, v12
	v_add_u32_e32 v2, s20, v2
	s_or_b64 s[14:15], vcc, s[14:15]
	s_waitcnt vmcnt(0) lgkmcnt(0)
	v_fmac_f64_e32 v[16:17], v[4:5], v[18:19]
	global_store_dwordx2 v[14:15], v[16:17], off
	s_andn2_b64 exec, exec, s[14:15]
	s_cbranch_execnz .LBB5_20
	s_branch .LBB5_5
.LBB5_21:
	s_endpgm
	.section	.rodata,"a",@progbits
	.p2align	6, 0x0
	.amdhsa_kernel _ZN9rocsolver6v33100L23larf_right_kernel_smallILi64EdiPdEEvT1_S3_T2_lS3_lPKT0_lS4_lS3_l
		.amdhsa_group_segment_fixed_size 16392
		.amdhsa_private_segment_fixed_size 0
		.amdhsa_kernarg_size 88
		.amdhsa_user_sgpr_count 2
		.amdhsa_user_sgpr_dispatch_ptr 0
		.amdhsa_user_sgpr_queue_ptr 0
		.amdhsa_user_sgpr_kernarg_segment_ptr 1
		.amdhsa_user_sgpr_dispatch_id 0
		.amdhsa_user_sgpr_kernarg_preload_length 0
		.amdhsa_user_sgpr_kernarg_preload_offset 0
		.amdhsa_user_sgpr_private_segment_size 0
		.amdhsa_uses_dynamic_stack 0
		.amdhsa_enable_private_segment 0
		.amdhsa_system_sgpr_workgroup_id_x 1
		.amdhsa_system_sgpr_workgroup_id_y 1
		.amdhsa_system_sgpr_workgroup_id_z 0
		.amdhsa_system_sgpr_workgroup_info 0
		.amdhsa_system_vgpr_workitem_id 0
		.amdhsa_next_free_vgpr 129
		.amdhsa_next_free_sgpr 96
		.amdhsa_accum_offset 20
		.amdhsa_reserve_vcc 1
		.amdhsa_float_round_mode_32 0
		.amdhsa_float_round_mode_16_64 0
		.amdhsa_float_denorm_mode_32 3
		.amdhsa_float_denorm_mode_16_64 3
		.amdhsa_dx10_clamp 1
		.amdhsa_ieee_mode 1
		.amdhsa_fp16_overflow 0
		.amdhsa_tg_split 0
		.amdhsa_exception_fp_ieee_invalid_op 0
		.amdhsa_exception_fp_denorm_src 0
		.amdhsa_exception_fp_ieee_div_zero 0
		.amdhsa_exception_fp_ieee_overflow 0
		.amdhsa_exception_fp_ieee_underflow 0
		.amdhsa_exception_fp_ieee_inexact 0
		.amdhsa_exception_int_div_zero 0
	.end_amdhsa_kernel
	.section	.text._ZN9rocsolver6v33100L23larf_right_kernel_smallILi64EdiPdEEvT1_S3_T2_lS3_lPKT0_lS4_lS3_l,"axG",@progbits,_ZN9rocsolver6v33100L23larf_right_kernel_smallILi64EdiPdEEvT1_S3_T2_lS3_lPKT0_lS4_lS3_l,comdat
.Lfunc_end5:
	.size	_ZN9rocsolver6v33100L23larf_right_kernel_smallILi64EdiPdEEvT1_S3_T2_lS3_lPKT0_lS4_lS3_l, .Lfunc_end5-_ZN9rocsolver6v33100L23larf_right_kernel_smallILi64EdiPdEEvT1_S3_T2_lS3_lPKT0_lS4_lS3_l
                                        ; -- End function
	.set _ZN9rocsolver6v33100L23larf_right_kernel_smallILi64EdiPdEEvT1_S3_T2_lS3_lPKT0_lS4_lS3_l.num_vgpr, 20
	.set _ZN9rocsolver6v33100L23larf_right_kernel_smallILi64EdiPdEEvT1_S3_T2_lS3_lPKT0_lS4_lS3_l.num_agpr, 0
	.set _ZN9rocsolver6v33100L23larf_right_kernel_smallILi64EdiPdEEvT1_S3_T2_lS3_lPKT0_lS4_lS3_l.numbered_sgpr, 28
	.set _ZN9rocsolver6v33100L23larf_right_kernel_smallILi64EdiPdEEvT1_S3_T2_lS3_lPKT0_lS4_lS3_l.num_named_barrier, 0
	.set _ZN9rocsolver6v33100L23larf_right_kernel_smallILi64EdiPdEEvT1_S3_T2_lS3_lPKT0_lS4_lS3_l.private_seg_size, 0
	.set _ZN9rocsolver6v33100L23larf_right_kernel_smallILi64EdiPdEEvT1_S3_T2_lS3_lPKT0_lS4_lS3_l.uses_vcc, 1
	.set _ZN9rocsolver6v33100L23larf_right_kernel_smallILi64EdiPdEEvT1_S3_T2_lS3_lPKT0_lS4_lS3_l.uses_flat_scratch, 0
	.set _ZN9rocsolver6v33100L23larf_right_kernel_smallILi64EdiPdEEvT1_S3_T2_lS3_lPKT0_lS4_lS3_l.has_dyn_sized_stack, 0
	.set _ZN9rocsolver6v33100L23larf_right_kernel_smallILi64EdiPdEEvT1_S3_T2_lS3_lPKT0_lS4_lS3_l.has_recursion, 0
	.set _ZN9rocsolver6v33100L23larf_right_kernel_smallILi64EdiPdEEvT1_S3_T2_lS3_lPKT0_lS4_lS3_l.has_indirect_call, 0
	.section	.AMDGPU.csdata,"",@progbits
; Kernel info:
; codeLenInByte = 1056
; TotalNumSgprs: 34
; NumVgprs: 20
; NumAgprs: 0
; TotalNumVgprs: 20
; ScratchSize: 0
; MemoryBound: 0
; FloatMode: 240
; IeeeMode: 1
; LDSByteSize: 16392 bytes/workgroup (compile time only)
; SGPRBlocks: 12
; VGPRBlocks: 16
; NumSGPRsForWavesPerEU: 102
; NumVGPRsForWavesPerEU: 129
; AccumOffset: 20
; Occupancy: 3
; WaveLimiterHint : 0
; COMPUTE_PGM_RSRC2:SCRATCH_EN: 0
; COMPUTE_PGM_RSRC2:USER_SGPR: 2
; COMPUTE_PGM_RSRC2:TRAP_HANDLER: 0
; COMPUTE_PGM_RSRC2:TGID_X_EN: 1
; COMPUTE_PGM_RSRC2:TGID_Y_EN: 1
; COMPUTE_PGM_RSRC2:TGID_Z_EN: 0
; COMPUTE_PGM_RSRC2:TIDIG_COMP_CNT: 0
; COMPUTE_PGM_RSRC3_GFX90A:ACCUM_OFFSET: 4
; COMPUTE_PGM_RSRC3_GFX90A:TG_SPLIT: 0
	.section	.text._ZN9rocsolver6v33100L23larf_right_kernel_smallILi128EdiPdEEvT1_S3_T2_lS3_lPKT0_lS4_lS3_l,"axG",@progbits,_ZN9rocsolver6v33100L23larf_right_kernel_smallILi128EdiPdEEvT1_S3_T2_lS3_lPKT0_lS4_lS3_l,comdat
	.globl	_ZN9rocsolver6v33100L23larf_right_kernel_smallILi128EdiPdEEvT1_S3_T2_lS3_lPKT0_lS4_lS3_l ; -- Begin function _ZN9rocsolver6v33100L23larf_right_kernel_smallILi128EdiPdEEvT1_S3_T2_lS3_lPKT0_lS4_lS3_l
	.p2align	8
	.type	_ZN9rocsolver6v33100L23larf_right_kernel_smallILi128EdiPdEEvT1_S3_T2_lS3_lPKT0_lS4_lS3_l,@function
_ZN9rocsolver6v33100L23larf_right_kernel_smallILi128EdiPdEEvT1_S3_T2_lS3_lPKT0_lS4_lS3_l: ; @_ZN9rocsolver6v33100L23larf_right_kernel_smallILi128EdiPdEEvT1_S3_T2_lS3_lPKT0_lS4_lS3_l
; %bb.0:
	s_load_dwordx2 s[18:19], s[0:1], 0x0
	s_load_dwordx8 s[8:15], s[0:1], 0x20
	s_load_dwordx2 s[4:5], s[0:1], 0x40
	s_mov_b32 s16, s3
	s_ashr_i32 s3, s2, 31
	s_waitcnt lgkmcnt(0)
	v_cmp_gt_i32_e64 s[6:7], s19, v0
	v_lshlrev_b32_e32 v1, 3, v0
	s_and_saveexec_b64 s[20:21], s[6:7]
	s_cbranch_execz .LBB6_3
; %bb.1:
	s_load_dwordx4 s[24:27], s[0:1], 0x8
	s_load_dword s17, s[0:1], 0x18
	s_mul_i32 s22, s8, s3
	s_mul_hi_u32 s23, s8, s2
	s_add_i32 s22, s23, s22
	s_mul_i32 s9, s9, s2
	s_add_i32 s9, s22, s9
	s_mul_i32 s8, s8, s2
	s_lshl_b64 s[8:9], s[8:9], 3
	s_waitcnt lgkmcnt(0)
	s_add_u32 s22, s24, s8
	s_addc_u32 s23, s25, s9
	s_lshl_b64 s[8:9], s[26:27], 3
	s_add_u32 s8, s22, s8
	s_addc_u32 s9, s23, s9
	s_sub_i32 s22, 1, s19
	s_mul_i32 s22, s17, s22
	s_cmp_lt_i32 s17, 1
	s_cselect_b32 s22, s22, 0
	v_mul_lo_u32 v2, v0, s17
	v_add_u32_e32 v2, s22, v2
	s_lshl_b32 s17, s17, 7
	v_lshlrev_b32_e32 v4, 3, v0
	s_mov_b64 s[22:23], 0
	v_mov_b32_e32 v5, v0
.LBB6_2:                                ; =>This Inner Loop Header: Depth=1
	v_ashrrev_i32_e32 v3, 31, v2
	v_lshl_add_u64 v[6:7], v[2:3], 3, s[8:9]
	global_load_dwordx2 v[6:7], v[6:7], off
	v_add_u32_e32 v5, 0x80, v5
	v_cmp_le_i32_e32 vcc, s19, v5
	v_add_u32_e32 v2, s17, v2
	s_or_b64 s[22:23], vcc, s[22:23]
	s_waitcnt vmcnt(0)
	ds_write_b64 v4, v[6:7]
	v_add_u32_e32 v4, 0x400, v4
	s_andn2_b64 exec, exec, s[22:23]
	s_cbranch_execnz .LBB6_2
.LBB6_3:
	s_or_b64 exec, exec, s[20:21]
	s_cmp_ge_i32 s16, s18
	s_waitcnt lgkmcnt(0)
	s_barrier
	s_cbranch_scc1 .LBB6_23
; %bb.4:
	s_load_dwordx2 s[8:9], s[0:1], 0x50
	s_load_dword s17, s[0:1], 0x48
	v_and_b32_e32 v2, 63, v0
	v_lshrrev_b32_e32 v8, 3, v0
	v_mov_b32_e32 v10, 0
	s_waitcnt lgkmcnt(0)
	s_mul_i32 s1, s8, s3
	s_mul_hi_u32 s20, s8, s2
	s_mul_i32 s9, s9, s2
	s_add_i32 s1, s20, s1
	s_mul_i32 s0, s8, s2
	s_add_i32 s1, s1, s9
	s_lshl_b64 s[0:1], s[0:1], 3
	s_add_u32 s8, s14, s0
	s_addc_u32 s9, s15, s1
	s_lshl_b64 s[0:1], s[4:5], 3
	s_add_u32 s22, s8, s0
	s_addc_u32 s23, s9, s1
	s_mul_i32 s0, s12, s3
	s_mul_hi_u32 s1, s12, s2
	s_add_i32 s0, s1, s0
	s_mul_i32 s1, s13, s2
	s_add_i32 s1, s0, s1
	s_mul_i32 s0, s12, s2
	s_lshl_b64 s[0:1], s[0:1], 3
	s_add_u32 s0, s10, s0
	s_addc_u32 s1, s11, s1
	v_cmp_eq_u32_e64 s[2:3], 0, v2
	v_mbcnt_lo_u32_b32 v2, -1, 0
	s_cmp_gt_i32 s19, 1
	v_mbcnt_hi_u32_b32 v11, -1, v2
	v_mov_b32_e32 v2, 0x80
	s_cselect_b64 s[8:9], -1, 0
	v_cmp_eq_u32_e64 s[4:5], 0, v0
	v_mul_lo_u32 v9, v0, s17
	s_lshl_b32 s24, s17, 7
	v_and_b32_e32 v12, 63, v11
	v_lshl_or_b32 v13, v11, 2, v2
	s_branch .LBB6_6
.LBB6_5:                                ;   in Loop: Header=BB6_6 Depth=1
	s_or_b64 exec, exec, s[12:13]
	s_add_i32 s16, s16, 64
	s_cmp_ge_i32 s16, s18
	s_cbranch_scc1 .LBB6_23
.LBB6_6:                                ; =>This Loop Header: Depth=1
                                        ;     Child Loop BB6_8 Depth 2
                                        ;     Child Loop BB6_22 Depth 2
	s_ashr_i32 s17, s16, 31
	s_lshl_b64 s[10:11], s[16:17], 3
	s_add_u32 s10, s22, s10
	s_addc_u32 s11, s23, s11
	v_mov_b64_e32 v[2:3], 0
	s_and_saveexec_b64 s[12:13], s[6:7]
	s_cbranch_execz .LBB6_10
; %bb.7:                                ;   in Loop: Header=BB6_6 Depth=1
	v_mov_b64_e32 v[2:3], 0
	s_mov_b64 s[14:15], 0
	v_mov_b32_e32 v4, v9
	v_mov_b32_e32 v6, v1
	;; [unrolled: 1-line block ×3, first 2 shown]
.LBB6_8:                                ;   Parent Loop BB6_6 Depth=1
                                        ; =>  This Inner Loop Header: Depth=2
	v_ashrrev_i32_e32 v5, 31, v4
	v_lshl_add_u64 v[14:15], v[4:5], 3, s[10:11]
	global_load_dwordx2 v[14:15], v[14:15], off
	ds_read_b64 v[16:17], v6
	v_add_u32_e32 v7, 0x80, v7
	v_cmp_le_i32_e32 vcc, s19, v7
	v_add_u32_e32 v6, 0x400, v6
	v_add_u32_e32 v4, s24, v4
	s_or_b64 s[14:15], vcc, s[14:15]
	s_waitcnt vmcnt(0) lgkmcnt(0)
	v_fmac_f64_e32 v[2:3], v[16:17], v[14:15]
	s_andn2_b64 exec, exec, s[14:15]
	s_cbranch_execnz .LBB6_8
; %bb.9:                                ;   in Loop: Header=BB6_6 Depth=1
	s_or_b64 exec, exec, s[14:15]
.LBB6_10:                               ;   in Loop: Header=BB6_6 Depth=1
	s_or_b64 exec, exec, s[12:13]
	s_and_b64 vcc, exec, s[8:9]
	s_cbranch_vccz .LBB6_17
; %bb.11:                               ;   in Loop: Header=BB6_6 Depth=1
	v_cmp_ne_u32_e32 vcc, 63, v12
	s_nop 1
	v_addc_co_u32_e32 v4, vcc, 0, v11, vcc
	v_lshlrev_b32_e32 v5, 2, v4
	ds_bpermute_b32 v4, v5, v2
	ds_bpermute_b32 v5, v5, v3
	v_cmp_gt_u32_e32 vcc, 62, v12
	s_waitcnt lgkmcnt(0)
	v_add_f64 v[4:5], v[2:3], v[4:5]
	v_cndmask_b32_e64 v6, 0, 2, vcc
	v_add_lshl_u32 v7, v6, v11, 2
	ds_bpermute_b32 v6, v7, v4
	ds_bpermute_b32 v7, v7, v5
	v_cmp_gt_u32_e32 vcc, 60, v12
	s_waitcnt lgkmcnt(0)
	v_add_f64 v[4:5], v[4:5], v[6:7]
	v_cndmask_b32_e64 v6, 0, 4, vcc
	v_add_lshl_u32 v7, v6, v11, 2
	;; [unrolled: 7-line block ×4, first 2 shown]
	ds_bpermute_b32 v6, v7, v4
	ds_bpermute_b32 v7, v7, v5
	s_waitcnt lgkmcnt(0)
	v_add_f64 v[4:5], v[4:5], v[6:7]
	ds_bpermute_b32 v6, v13, v4
	ds_bpermute_b32 v7, v13, v5
	s_waitcnt lgkmcnt(0)
	v_add_f64 v[6:7], v[4:5], v[6:7]
	s_and_saveexec_b64 s[12:13], s[2:3]
; %bb.12:                               ;   in Loop: Header=BB6_6 Depth=1
	ds_write_b64 v8, v[6:7] offset:16384
; %bb.13:                               ;   in Loop: Header=BB6_6 Depth=1
	s_or_b64 exec, exec, s[12:13]
	s_mov_b64 s[14:15], 0
	s_mov_b64 s[12:13], 0
	s_waitcnt lgkmcnt(0)
	s_barrier
                                        ; implicit-def: $vgpr4_vgpr5
	s_and_saveexec_b64 s[20:21], s[4:5]
	s_xor_b64 s[20:21], exec, s[20:21]
	s_cbranch_execz .LBB6_15
; %bb.14:                               ;   in Loop: Header=BB6_6 Depth=1
	ds_read_b64 v[4:5], v10 offset:16392
	s_mov_b64 s[12:13], exec
	s_waitcnt lgkmcnt(0)
	v_add_f64 v[4:5], v[6:7], v[4:5]
.LBB6_15:                               ;   in Loop: Header=BB6_6 Depth=1
	s_or_b64 exec, exec, s[20:21]
	s_and_b64 vcc, exec, s[14:15]
	s_cbranch_vccnz .LBB6_18
.LBB6_16:                               ;   in Loop: Header=BB6_6 Depth=1
	v_mov_b64_e32 v[2:3], v[4:5]
	s_and_saveexec_b64 s[14:15], s[12:13]
	s_cbranch_execnz .LBB6_19
	s_branch .LBB6_20
.LBB6_17:                               ;   in Loop: Header=BB6_6 Depth=1
	s_mov_b64 s[12:13], 0
                                        ; implicit-def: $vgpr4_vgpr5
	s_cbranch_execz .LBB6_16
.LBB6_18:                               ;   in Loop: Header=BB6_6 Depth=1
	s_andn2_b64 s[12:13], s[12:13], exec
	s_and_b64 s[14:15], s[4:5], exec
	s_or_b64 s[12:13], s[12:13], s[14:15]
	s_and_saveexec_b64 s[14:15], s[12:13]
.LBB6_19:                               ;   in Loop: Header=BB6_6 Depth=1
	ds_write_b64 v10, v[2:3] offset:16384
.LBB6_20:                               ;   in Loop: Header=BB6_6 Depth=1
	s_or_b64 exec, exec, s[14:15]
	s_waitcnt lgkmcnt(0)
	s_barrier
	s_and_saveexec_b64 s[12:13], s[6:7]
	s_cbranch_execz .LBB6_5
; %bb.21:                               ;   in Loop: Header=BB6_6 Depth=1
	global_load_dwordx2 v[4:5], v10, s[0:1]
	ds_read_b64 v[14:15], v10 offset:16384
	s_mov_b64 s[14:15], 0
	v_mov_b32_e32 v6, v1
	v_mov_b32_e32 v2, v9
	;; [unrolled: 1-line block ×3, first 2 shown]
	s_waitcnt vmcnt(0) lgkmcnt(0)
	v_mul_f64 v[4:5], v[14:15], -v[4:5]
.LBB6_22:                               ;   Parent Loop BB6_6 Depth=1
                                        ; =>  This Inner Loop Header: Depth=2
	v_ashrrev_i32_e32 v3, 31, v2
	v_lshl_add_u64 v[14:15], v[2:3], 3, s[10:11]
	global_load_dwordx2 v[16:17], v[14:15], off
	ds_read_b64 v[18:19], v6
	v_add_u32_e32 v7, 0x80, v7
	v_cmp_le_i32_e32 vcc, s19, v7
	v_add_u32_e32 v6, 0x400, v6
	v_add_u32_e32 v2, s24, v2
	s_or_b64 s[14:15], vcc, s[14:15]
	s_waitcnt vmcnt(0) lgkmcnt(0)
	v_fmac_f64_e32 v[16:17], v[4:5], v[18:19]
	global_store_dwordx2 v[14:15], v[16:17], off
	s_andn2_b64 exec, exec, s[14:15]
	s_cbranch_execnz .LBB6_22
	s_branch .LBB6_5
.LBB6_23:
	s_endpgm
	.section	.rodata,"a",@progbits
	.p2align	6, 0x0
	.amdhsa_kernel _ZN9rocsolver6v33100L23larf_right_kernel_smallILi128EdiPdEEvT1_S3_T2_lS3_lPKT0_lS4_lS3_l
		.amdhsa_group_segment_fixed_size 16400
		.amdhsa_private_segment_fixed_size 0
		.amdhsa_kernarg_size 88
		.amdhsa_user_sgpr_count 2
		.amdhsa_user_sgpr_dispatch_ptr 0
		.amdhsa_user_sgpr_queue_ptr 0
		.amdhsa_user_sgpr_kernarg_segment_ptr 1
		.amdhsa_user_sgpr_dispatch_id 0
		.amdhsa_user_sgpr_kernarg_preload_length 0
		.amdhsa_user_sgpr_kernarg_preload_offset 0
		.amdhsa_user_sgpr_private_segment_size 0
		.amdhsa_uses_dynamic_stack 0
		.amdhsa_enable_private_segment 0
		.amdhsa_system_sgpr_workgroup_id_x 1
		.amdhsa_system_sgpr_workgroup_id_y 1
		.amdhsa_system_sgpr_workgroup_id_z 0
		.amdhsa_system_sgpr_workgroup_info 0
		.amdhsa_system_vgpr_workitem_id 0
		.amdhsa_next_free_vgpr 81
		.amdhsa_next_free_sgpr 96
		.amdhsa_accum_offset 20
		.amdhsa_reserve_vcc 1
		.amdhsa_float_round_mode_32 0
		.amdhsa_float_round_mode_16_64 0
		.amdhsa_float_denorm_mode_32 3
		.amdhsa_float_denorm_mode_16_64 3
		.amdhsa_dx10_clamp 1
		.amdhsa_ieee_mode 1
		.amdhsa_fp16_overflow 0
		.amdhsa_tg_split 0
		.amdhsa_exception_fp_ieee_invalid_op 0
		.amdhsa_exception_fp_denorm_src 0
		.amdhsa_exception_fp_ieee_div_zero 0
		.amdhsa_exception_fp_ieee_overflow 0
		.amdhsa_exception_fp_ieee_underflow 0
		.amdhsa_exception_fp_ieee_inexact 0
		.amdhsa_exception_int_div_zero 0
	.end_amdhsa_kernel
	.section	.text._ZN9rocsolver6v33100L23larf_right_kernel_smallILi128EdiPdEEvT1_S3_T2_lS3_lPKT0_lS4_lS3_l,"axG",@progbits,_ZN9rocsolver6v33100L23larf_right_kernel_smallILi128EdiPdEEvT1_S3_T2_lS3_lPKT0_lS4_lS3_l,comdat
.Lfunc_end6:
	.size	_ZN9rocsolver6v33100L23larf_right_kernel_smallILi128EdiPdEEvT1_S3_T2_lS3_lPKT0_lS4_lS3_l, .Lfunc_end6-_ZN9rocsolver6v33100L23larf_right_kernel_smallILi128EdiPdEEvT1_S3_T2_lS3_lPKT0_lS4_lS3_l
                                        ; -- End function
	.set _ZN9rocsolver6v33100L23larf_right_kernel_smallILi128EdiPdEEvT1_S3_T2_lS3_lPKT0_lS4_lS3_l.num_vgpr, 20
	.set _ZN9rocsolver6v33100L23larf_right_kernel_smallILi128EdiPdEEvT1_S3_T2_lS3_lPKT0_lS4_lS3_l.num_agpr, 0
	.set _ZN9rocsolver6v33100L23larf_right_kernel_smallILi128EdiPdEEvT1_S3_T2_lS3_lPKT0_lS4_lS3_l.numbered_sgpr, 28
	.set _ZN9rocsolver6v33100L23larf_right_kernel_smallILi128EdiPdEEvT1_S3_T2_lS3_lPKT0_lS4_lS3_l.num_named_barrier, 0
	.set _ZN9rocsolver6v33100L23larf_right_kernel_smallILi128EdiPdEEvT1_S3_T2_lS3_lPKT0_lS4_lS3_l.private_seg_size, 0
	.set _ZN9rocsolver6v33100L23larf_right_kernel_smallILi128EdiPdEEvT1_S3_T2_lS3_lPKT0_lS4_lS3_l.uses_vcc, 1
	.set _ZN9rocsolver6v33100L23larf_right_kernel_smallILi128EdiPdEEvT1_S3_T2_lS3_lPKT0_lS4_lS3_l.uses_flat_scratch, 0
	.set _ZN9rocsolver6v33100L23larf_right_kernel_smallILi128EdiPdEEvT1_S3_T2_lS3_lPKT0_lS4_lS3_l.has_dyn_sized_stack, 0
	.set _ZN9rocsolver6v33100L23larf_right_kernel_smallILi128EdiPdEEvT1_S3_T2_lS3_lPKT0_lS4_lS3_l.has_recursion, 0
	.set _ZN9rocsolver6v33100L23larf_right_kernel_smallILi128EdiPdEEvT1_S3_T2_lS3_lPKT0_lS4_lS3_l.has_indirect_call, 0
	.section	.AMDGPU.csdata,"",@progbits
; Kernel info:
; codeLenInByte = 1144
; TotalNumSgprs: 34
; NumVgprs: 20
; NumAgprs: 0
; TotalNumVgprs: 20
; ScratchSize: 0
; MemoryBound: 0
; FloatMode: 240
; IeeeMode: 1
; LDSByteSize: 16400 bytes/workgroup (compile time only)
; SGPRBlocks: 12
; VGPRBlocks: 10
; NumSGPRsForWavesPerEU: 102
; NumVGPRsForWavesPerEU: 81
; AccumOffset: 20
; Occupancy: 5
; WaveLimiterHint : 0
; COMPUTE_PGM_RSRC2:SCRATCH_EN: 0
; COMPUTE_PGM_RSRC2:USER_SGPR: 2
; COMPUTE_PGM_RSRC2:TRAP_HANDLER: 0
; COMPUTE_PGM_RSRC2:TGID_X_EN: 1
; COMPUTE_PGM_RSRC2:TGID_Y_EN: 1
; COMPUTE_PGM_RSRC2:TGID_Z_EN: 0
; COMPUTE_PGM_RSRC2:TIDIG_COMP_CNT: 0
; COMPUTE_PGM_RSRC3_GFX90A:ACCUM_OFFSET: 4
; COMPUTE_PGM_RSRC3_GFX90A:TG_SPLIT: 0
	.section	.text._ZN9rocsolver6v33100L23larf_right_kernel_smallILi256EdiPdEEvT1_S3_T2_lS3_lPKT0_lS4_lS3_l,"axG",@progbits,_ZN9rocsolver6v33100L23larf_right_kernel_smallILi256EdiPdEEvT1_S3_T2_lS3_lPKT0_lS4_lS3_l,comdat
	.globl	_ZN9rocsolver6v33100L23larf_right_kernel_smallILi256EdiPdEEvT1_S3_T2_lS3_lPKT0_lS4_lS3_l ; -- Begin function _ZN9rocsolver6v33100L23larf_right_kernel_smallILi256EdiPdEEvT1_S3_T2_lS3_lPKT0_lS4_lS3_l
	.p2align	8
	.type	_ZN9rocsolver6v33100L23larf_right_kernel_smallILi256EdiPdEEvT1_S3_T2_lS3_lPKT0_lS4_lS3_l,@function
_ZN9rocsolver6v33100L23larf_right_kernel_smallILi256EdiPdEEvT1_S3_T2_lS3_lPKT0_lS4_lS3_l: ; @_ZN9rocsolver6v33100L23larf_right_kernel_smallILi256EdiPdEEvT1_S3_T2_lS3_lPKT0_lS4_lS3_l
; %bb.0:
	s_load_dwordx2 s[18:19], s[0:1], 0x0
	s_load_dwordx8 s[8:15], s[0:1], 0x20
	s_load_dwordx2 s[4:5], s[0:1], 0x40
	s_mov_b32 s16, s3
	s_ashr_i32 s3, s2, 31
	s_waitcnt lgkmcnt(0)
	v_cmp_gt_i32_e64 s[6:7], s19, v0
	v_lshlrev_b32_e32 v1, 3, v0
	s_and_saveexec_b64 s[20:21], s[6:7]
	s_cbranch_execz .LBB7_3
; %bb.1:
	s_load_dwordx4 s[24:27], s[0:1], 0x8
	s_load_dword s17, s[0:1], 0x18
	s_mul_i32 s22, s8, s3
	s_mul_hi_u32 s23, s8, s2
	s_add_i32 s22, s23, s22
	s_mul_i32 s9, s9, s2
	s_add_i32 s9, s22, s9
	s_mul_i32 s8, s8, s2
	s_lshl_b64 s[8:9], s[8:9], 3
	s_waitcnt lgkmcnt(0)
	s_add_u32 s22, s24, s8
	s_addc_u32 s23, s25, s9
	s_lshl_b64 s[8:9], s[26:27], 3
	s_add_u32 s8, s22, s8
	s_addc_u32 s9, s23, s9
	s_sub_i32 s22, 1, s19
	s_mul_i32 s22, s17, s22
	s_cmp_lt_i32 s17, 1
	s_cselect_b32 s22, s22, 0
	v_mul_lo_u32 v2, v0, s17
	v_add_u32_e32 v2, s22, v2
	s_lshl_b32 s17, s17, 8
	v_lshlrev_b32_e32 v4, 3, v0
	s_mov_b64 s[22:23], 0
	v_mov_b32_e32 v5, v0
.LBB7_2:                                ; =>This Inner Loop Header: Depth=1
	v_ashrrev_i32_e32 v3, 31, v2
	v_lshl_add_u64 v[6:7], v[2:3], 3, s[8:9]
	global_load_dwordx2 v[6:7], v[6:7], off
	v_add_u32_e32 v5, 0x100, v5
	v_cmp_le_i32_e32 vcc, s19, v5
	v_add_u32_e32 v2, s17, v2
	s_or_b64 s[22:23], vcc, s[22:23]
	s_waitcnt vmcnt(0)
	ds_write_b64 v4, v[6:7]
	v_add_u32_e32 v4, 0x800, v4
	s_andn2_b64 exec, exec, s[22:23]
	s_cbranch_execnz .LBB7_2
.LBB7_3:
	s_or_b64 exec, exec, s[20:21]
	s_cmp_ge_i32 s16, s18
	s_waitcnt lgkmcnt(0)
	s_barrier
	s_cbranch_scc1 .LBB7_23
; %bb.4:
	s_load_dwordx2 s[8:9], s[0:1], 0x50
	s_load_dword s17, s[0:1], 0x48
	v_and_b32_e32 v2, 63, v0
	v_lshrrev_b32_e32 v8, 3, v0
	v_mov_b32_e32 v10, 0x4008
	s_waitcnt lgkmcnt(0)
	s_mul_i32 s1, s8, s3
	s_mul_hi_u32 s20, s8, s2
	s_mul_i32 s9, s9, s2
	s_add_i32 s1, s20, s1
	s_mul_i32 s0, s8, s2
	s_add_i32 s1, s1, s9
	s_lshl_b64 s[0:1], s[0:1], 3
	s_add_u32 s8, s14, s0
	s_addc_u32 s9, s15, s1
	s_lshl_b64 s[0:1], s[4:5], 3
	s_add_u32 s22, s8, s0
	s_addc_u32 s23, s9, s1
	s_mul_i32 s0, s12, s3
	s_mul_hi_u32 s1, s12, s2
	s_add_i32 s0, s1, s0
	s_mul_i32 s1, s13, s2
	s_add_i32 s1, s0, s1
	s_mul_i32 s0, s12, s2
	s_lshl_b64 s[0:1], s[0:1], 3
	s_add_u32 s0, s10, s0
	s_addc_u32 s1, s11, s1
	v_cmp_eq_u32_e64 s[2:3], 0, v2
	v_mbcnt_lo_u32_b32 v2, -1, 0
	s_cmp_gt_i32 s19, 1
	v_mbcnt_hi_u32_b32 v12, -1, v2
	v_mov_b32_e32 v2, 0x80
	s_cselect_b64 s[8:9], -1, 0
	v_cmp_eq_u32_e64 s[4:5], 0, v0
	v_mul_lo_u32 v9, v0, s17
	s_lshl_b32 s24, s17, 8
	v_mov_b32_e32 v11, 0
	v_and_b32_e32 v13, 63, v12
	v_lshl_or_b32 v14, v12, 2, v2
	s_branch .LBB7_6
.LBB7_5:                                ;   in Loop: Header=BB7_6 Depth=1
	s_or_b64 exec, exec, s[12:13]
	s_add_i32 s16, s16, 64
	s_cmp_ge_i32 s16, s18
	s_cbranch_scc1 .LBB7_23
.LBB7_6:                                ; =>This Loop Header: Depth=1
                                        ;     Child Loop BB7_8 Depth 2
                                        ;     Child Loop BB7_22 Depth 2
	s_ashr_i32 s17, s16, 31
	s_lshl_b64 s[10:11], s[16:17], 3
	s_add_u32 s10, s22, s10
	s_addc_u32 s11, s23, s11
	v_mov_b64_e32 v[2:3], 0
	s_and_saveexec_b64 s[12:13], s[6:7]
	s_cbranch_execz .LBB7_10
; %bb.7:                                ;   in Loop: Header=BB7_6 Depth=1
	v_mov_b64_e32 v[2:3], 0
	s_mov_b64 s[14:15], 0
	v_mov_b32_e32 v4, v9
	v_mov_b32_e32 v6, v1
	;; [unrolled: 1-line block ×3, first 2 shown]
.LBB7_8:                                ;   Parent Loop BB7_6 Depth=1
                                        ; =>  This Inner Loop Header: Depth=2
	v_ashrrev_i32_e32 v5, 31, v4
	v_lshl_add_u64 v[16:17], v[4:5], 3, s[10:11]
	global_load_dwordx2 v[16:17], v[16:17], off
	ds_read_b64 v[18:19], v6
	v_add_u32_e32 v7, 0x100, v7
	v_cmp_le_i32_e32 vcc, s19, v7
	v_add_u32_e32 v6, 0x800, v6
	v_add_u32_e32 v4, s24, v4
	s_or_b64 s[14:15], vcc, s[14:15]
	s_waitcnt vmcnt(0) lgkmcnt(0)
	v_fmac_f64_e32 v[2:3], v[18:19], v[16:17]
	s_andn2_b64 exec, exec, s[14:15]
	s_cbranch_execnz .LBB7_8
; %bb.9:                                ;   in Loop: Header=BB7_6 Depth=1
	s_or_b64 exec, exec, s[14:15]
.LBB7_10:                               ;   in Loop: Header=BB7_6 Depth=1
	s_or_b64 exec, exec, s[12:13]
	s_and_b64 vcc, exec, s[8:9]
	s_cbranch_vccz .LBB7_17
; %bb.11:                               ;   in Loop: Header=BB7_6 Depth=1
	v_cmp_ne_u32_e32 vcc, 63, v13
	s_nop 1
	v_addc_co_u32_e32 v4, vcc, 0, v12, vcc
	v_lshlrev_b32_e32 v5, 2, v4
	ds_bpermute_b32 v4, v5, v2
	ds_bpermute_b32 v5, v5, v3
	v_cmp_gt_u32_e32 vcc, 62, v13
	s_waitcnt lgkmcnt(0)
	v_add_f64 v[4:5], v[2:3], v[4:5]
	v_cndmask_b32_e64 v6, 0, 2, vcc
	v_add_lshl_u32 v7, v6, v12, 2
	ds_bpermute_b32 v6, v7, v4
	ds_bpermute_b32 v7, v7, v5
	v_cmp_gt_u32_e32 vcc, 60, v13
	s_waitcnt lgkmcnt(0)
	v_add_f64 v[4:5], v[4:5], v[6:7]
	v_cndmask_b32_e64 v6, 0, 4, vcc
	v_add_lshl_u32 v7, v6, v12, 2
	;; [unrolled: 7-line block ×4, first 2 shown]
	ds_bpermute_b32 v6, v7, v4
	ds_bpermute_b32 v7, v7, v5
	s_waitcnt lgkmcnt(0)
	v_add_f64 v[4:5], v[4:5], v[6:7]
	ds_bpermute_b32 v6, v14, v4
	ds_bpermute_b32 v7, v14, v5
	s_waitcnt lgkmcnt(0)
	v_add_f64 v[4:5], v[4:5], v[6:7]
	s_and_saveexec_b64 s[12:13], s[2:3]
; %bb.12:                               ;   in Loop: Header=BB7_6 Depth=1
	ds_write_b64 v8, v[4:5] offset:16384
; %bb.13:                               ;   in Loop: Header=BB7_6 Depth=1
	s_or_b64 exec, exec, s[12:13]
	s_mov_b64 s[14:15], 0
	s_mov_b64 s[12:13], 0
	s_waitcnt lgkmcnt(0)
	s_barrier
                                        ; implicit-def: $vgpr6_vgpr7
	s_and_saveexec_b64 s[20:21], s[4:5]
	s_xor_b64 s[20:21], exec, s[20:21]
	s_cbranch_execz .LBB7_15
; %bb.14:                               ;   in Loop: Header=BB7_6 Depth=1
	ds_read2_b64 v[16:19], v10 offset1:1
	ds_read_b64 v[6:7], v11 offset:16408
	s_mov_b64 s[12:13], exec
	s_waitcnt lgkmcnt(1)
	v_add_f64 v[4:5], v[4:5], v[16:17]
	v_add_f64 v[4:5], v[4:5], v[18:19]
	s_waitcnt lgkmcnt(0)
	v_add_f64 v[6:7], v[4:5], v[6:7]
.LBB7_15:                               ;   in Loop: Header=BB7_6 Depth=1
	s_or_b64 exec, exec, s[20:21]
	s_and_b64 vcc, exec, s[14:15]
	s_cbranch_vccnz .LBB7_18
.LBB7_16:                               ;   in Loop: Header=BB7_6 Depth=1
	v_mov_b64_e32 v[2:3], v[6:7]
	s_and_saveexec_b64 s[14:15], s[12:13]
	s_cbranch_execnz .LBB7_19
	s_branch .LBB7_20
.LBB7_17:                               ;   in Loop: Header=BB7_6 Depth=1
	s_mov_b64 s[12:13], 0
                                        ; implicit-def: $vgpr6_vgpr7
	s_cbranch_execz .LBB7_16
.LBB7_18:                               ;   in Loop: Header=BB7_6 Depth=1
	s_andn2_b64 s[12:13], s[12:13], exec
	s_and_b64 s[14:15], s[4:5], exec
	s_or_b64 s[12:13], s[12:13], s[14:15]
	s_and_saveexec_b64 s[14:15], s[12:13]
.LBB7_19:                               ;   in Loop: Header=BB7_6 Depth=1
	ds_write_b64 v11, v[2:3] offset:16384
.LBB7_20:                               ;   in Loop: Header=BB7_6 Depth=1
	s_or_b64 exec, exec, s[14:15]
	s_waitcnt lgkmcnt(0)
	s_barrier
	s_and_saveexec_b64 s[12:13], s[6:7]
	s_cbranch_execz .LBB7_5
; %bb.21:                               ;   in Loop: Header=BB7_6 Depth=1
	global_load_dwordx2 v[4:5], v11, s[0:1]
	ds_read_b64 v[16:17], v11 offset:16384
	s_mov_b64 s[14:15], 0
	v_mov_b32_e32 v6, v1
	v_mov_b32_e32 v2, v9
	;; [unrolled: 1-line block ×3, first 2 shown]
	s_waitcnt vmcnt(0) lgkmcnt(0)
	v_mul_f64 v[4:5], v[16:17], -v[4:5]
.LBB7_22:                               ;   Parent Loop BB7_6 Depth=1
                                        ; =>  This Inner Loop Header: Depth=2
	v_ashrrev_i32_e32 v3, 31, v2
	v_lshl_add_u64 v[16:17], v[2:3], 3, s[10:11]
	global_load_dwordx2 v[18:19], v[16:17], off
	ds_read_b64 v[20:21], v6
	v_add_u32_e32 v7, 0x100, v7
	v_cmp_le_i32_e32 vcc, s19, v7
	v_add_u32_e32 v6, 0x800, v6
	v_add_u32_e32 v2, s24, v2
	s_or_b64 s[14:15], vcc, s[14:15]
	s_waitcnt vmcnt(0) lgkmcnt(0)
	v_fmac_f64_e32 v[18:19], v[4:5], v[20:21]
	global_store_dwordx2 v[16:17], v[18:19], off
	s_andn2_b64 exec, exec, s[14:15]
	s_cbranch_execnz .LBB7_22
	s_branch .LBB7_5
.LBB7_23:
	s_endpgm
	.section	.rodata,"a",@progbits
	.p2align	6, 0x0
	.amdhsa_kernel _ZN9rocsolver6v33100L23larf_right_kernel_smallILi256EdiPdEEvT1_S3_T2_lS3_lPKT0_lS4_lS3_l
		.amdhsa_group_segment_fixed_size 16416
		.amdhsa_private_segment_fixed_size 0
		.amdhsa_kernarg_size 88
		.amdhsa_user_sgpr_count 2
		.amdhsa_user_sgpr_dispatch_ptr 0
		.amdhsa_user_sgpr_queue_ptr 0
		.amdhsa_user_sgpr_kernarg_segment_ptr 1
		.amdhsa_user_sgpr_dispatch_id 0
		.amdhsa_user_sgpr_kernarg_preload_length 0
		.amdhsa_user_sgpr_kernarg_preload_offset 0
		.amdhsa_user_sgpr_private_segment_size 0
		.amdhsa_uses_dynamic_stack 0
		.amdhsa_enable_private_segment 0
		.amdhsa_system_sgpr_workgroup_id_x 1
		.amdhsa_system_sgpr_workgroup_id_y 1
		.amdhsa_system_sgpr_workgroup_id_z 0
		.amdhsa_system_sgpr_workgroup_info 0
		.amdhsa_system_vgpr_workitem_id 0
		.amdhsa_next_free_vgpr 22
		.amdhsa_next_free_sgpr 28
		.amdhsa_accum_offset 24
		.amdhsa_reserve_vcc 1
		.amdhsa_float_round_mode_32 0
		.amdhsa_float_round_mode_16_64 0
		.amdhsa_float_denorm_mode_32 3
		.amdhsa_float_denorm_mode_16_64 3
		.amdhsa_dx10_clamp 1
		.amdhsa_ieee_mode 1
		.amdhsa_fp16_overflow 0
		.amdhsa_tg_split 0
		.amdhsa_exception_fp_ieee_invalid_op 0
		.amdhsa_exception_fp_denorm_src 0
		.amdhsa_exception_fp_ieee_div_zero 0
		.amdhsa_exception_fp_ieee_overflow 0
		.amdhsa_exception_fp_ieee_underflow 0
		.amdhsa_exception_fp_ieee_inexact 0
		.amdhsa_exception_int_div_zero 0
	.end_amdhsa_kernel
	.section	.text._ZN9rocsolver6v33100L23larf_right_kernel_smallILi256EdiPdEEvT1_S3_T2_lS3_lPKT0_lS4_lS3_l,"axG",@progbits,_ZN9rocsolver6v33100L23larf_right_kernel_smallILi256EdiPdEEvT1_S3_T2_lS3_lPKT0_lS4_lS3_l,comdat
.Lfunc_end7:
	.size	_ZN9rocsolver6v33100L23larf_right_kernel_smallILi256EdiPdEEvT1_S3_T2_lS3_lPKT0_lS4_lS3_l, .Lfunc_end7-_ZN9rocsolver6v33100L23larf_right_kernel_smallILi256EdiPdEEvT1_S3_T2_lS3_lPKT0_lS4_lS3_l
                                        ; -- End function
	.set _ZN9rocsolver6v33100L23larf_right_kernel_smallILi256EdiPdEEvT1_S3_T2_lS3_lPKT0_lS4_lS3_l.num_vgpr, 22
	.set _ZN9rocsolver6v33100L23larf_right_kernel_smallILi256EdiPdEEvT1_S3_T2_lS3_lPKT0_lS4_lS3_l.num_agpr, 0
	.set _ZN9rocsolver6v33100L23larf_right_kernel_smallILi256EdiPdEEvT1_S3_T2_lS3_lPKT0_lS4_lS3_l.numbered_sgpr, 28
	.set _ZN9rocsolver6v33100L23larf_right_kernel_smallILi256EdiPdEEvT1_S3_T2_lS3_lPKT0_lS4_lS3_l.num_named_barrier, 0
	.set _ZN9rocsolver6v33100L23larf_right_kernel_smallILi256EdiPdEEvT1_S3_T2_lS3_lPKT0_lS4_lS3_l.private_seg_size, 0
	.set _ZN9rocsolver6v33100L23larf_right_kernel_smallILi256EdiPdEEvT1_S3_T2_lS3_lPKT0_lS4_lS3_l.uses_vcc, 1
	.set _ZN9rocsolver6v33100L23larf_right_kernel_smallILi256EdiPdEEvT1_S3_T2_lS3_lPKT0_lS4_lS3_l.uses_flat_scratch, 0
	.set _ZN9rocsolver6v33100L23larf_right_kernel_smallILi256EdiPdEEvT1_S3_T2_lS3_lPKT0_lS4_lS3_l.has_dyn_sized_stack, 0
	.set _ZN9rocsolver6v33100L23larf_right_kernel_smallILi256EdiPdEEvT1_S3_T2_lS3_lPKT0_lS4_lS3_l.has_recursion, 0
	.set _ZN9rocsolver6v33100L23larf_right_kernel_smallILi256EdiPdEEvT1_S3_T2_lS3_lPKT0_lS4_lS3_l.has_indirect_call, 0
	.section	.AMDGPU.csdata,"",@progbits
; Kernel info:
; codeLenInByte = 1180
; TotalNumSgprs: 34
; NumVgprs: 22
; NumAgprs: 0
; TotalNumVgprs: 22
; ScratchSize: 0
; MemoryBound: 0
; FloatMode: 240
; IeeeMode: 1
; LDSByteSize: 16416 bytes/workgroup (compile time only)
; SGPRBlocks: 4
; VGPRBlocks: 2
; NumSGPRsForWavesPerEU: 34
; NumVGPRsForWavesPerEU: 22
; AccumOffset: 24
; Occupancy: 8
; WaveLimiterHint : 0
; COMPUTE_PGM_RSRC2:SCRATCH_EN: 0
; COMPUTE_PGM_RSRC2:USER_SGPR: 2
; COMPUTE_PGM_RSRC2:TRAP_HANDLER: 0
; COMPUTE_PGM_RSRC2:TGID_X_EN: 1
; COMPUTE_PGM_RSRC2:TGID_Y_EN: 1
; COMPUTE_PGM_RSRC2:TGID_Z_EN: 0
; COMPUTE_PGM_RSRC2:TIDIG_COMP_CNT: 0
; COMPUTE_PGM_RSRC3_GFX90A:ACCUM_OFFSET: 5
; COMPUTE_PGM_RSRC3_GFX90A:TG_SPLIT: 0
	.section	.text._ZN9rocsolver6v33100L23larf_right_kernel_smallILi512EdiPdEEvT1_S3_T2_lS3_lPKT0_lS4_lS3_l,"axG",@progbits,_ZN9rocsolver6v33100L23larf_right_kernel_smallILi512EdiPdEEvT1_S3_T2_lS3_lPKT0_lS4_lS3_l,comdat
	.globl	_ZN9rocsolver6v33100L23larf_right_kernel_smallILi512EdiPdEEvT1_S3_T2_lS3_lPKT0_lS4_lS3_l ; -- Begin function _ZN9rocsolver6v33100L23larf_right_kernel_smallILi512EdiPdEEvT1_S3_T2_lS3_lPKT0_lS4_lS3_l
	.p2align	8
	.type	_ZN9rocsolver6v33100L23larf_right_kernel_smallILi512EdiPdEEvT1_S3_T2_lS3_lPKT0_lS4_lS3_l,@function
_ZN9rocsolver6v33100L23larf_right_kernel_smallILi512EdiPdEEvT1_S3_T2_lS3_lPKT0_lS4_lS3_l: ; @_ZN9rocsolver6v33100L23larf_right_kernel_smallILi512EdiPdEEvT1_S3_T2_lS3_lPKT0_lS4_lS3_l
; %bb.0:
	s_load_dwordx2 s[18:19], s[0:1], 0x0
	s_load_dwordx8 s[8:15], s[0:1], 0x20
	s_load_dwordx2 s[4:5], s[0:1], 0x40
	s_mov_b32 s16, s3
	s_ashr_i32 s3, s2, 31
	s_waitcnt lgkmcnt(0)
	v_cmp_gt_i32_e64 s[6:7], s19, v0
	v_lshlrev_b32_e32 v1, 3, v0
	s_and_saveexec_b64 s[20:21], s[6:7]
	s_cbranch_execz .LBB8_3
; %bb.1:
	s_load_dwordx4 s[24:27], s[0:1], 0x8
	s_load_dword s17, s[0:1], 0x18
	s_mul_i32 s22, s8, s3
	s_mul_hi_u32 s23, s8, s2
	s_add_i32 s22, s23, s22
	s_mul_i32 s9, s9, s2
	s_add_i32 s9, s22, s9
	s_mul_i32 s8, s8, s2
	s_lshl_b64 s[8:9], s[8:9], 3
	s_waitcnt lgkmcnt(0)
	s_add_u32 s22, s24, s8
	s_addc_u32 s23, s25, s9
	s_lshl_b64 s[8:9], s[26:27], 3
	s_add_u32 s8, s22, s8
	s_addc_u32 s9, s23, s9
	s_sub_i32 s22, 1, s19
	s_mul_i32 s22, s17, s22
	s_cmp_lt_i32 s17, 1
	s_cselect_b32 s22, s22, 0
	v_mul_lo_u32 v2, v0, s17
	v_add_u32_e32 v2, s22, v2
	s_lshl_b32 s17, s17, 9
	v_lshlrev_b32_e32 v4, 3, v0
	s_mov_b64 s[22:23], 0
	v_mov_b32_e32 v5, v0
.LBB8_2:                                ; =>This Inner Loop Header: Depth=1
	v_ashrrev_i32_e32 v3, 31, v2
	v_lshl_add_u64 v[6:7], v[2:3], 3, s[8:9]
	global_load_dwordx2 v[6:7], v[6:7], off
	v_add_u32_e32 v5, 0x200, v5
	v_cmp_le_i32_e32 vcc, s19, v5
	v_add_u32_e32 v2, s17, v2
	s_or_b64 s[22:23], vcc, s[22:23]
	s_waitcnt vmcnt(0)
	ds_write_b64 v4, v[6:7]
	v_add_u32_e32 v4, 0x1000, v4
	s_andn2_b64 exec, exec, s[22:23]
	s_cbranch_execnz .LBB8_2
.LBB8_3:
	s_or_b64 exec, exec, s[20:21]
	s_cmp_ge_i32 s16, s18
	s_waitcnt lgkmcnt(0)
	s_barrier
	s_cbranch_scc1 .LBB8_23
; %bb.4:
	s_load_dwordx2 s[8:9], s[0:1], 0x50
	s_load_dword s17, s[0:1], 0x48
	v_and_b32_e32 v2, 63, v0
	v_lshrrev_b32_e32 v8, 3, v0
	v_mov_b32_e32 v10, 0x4008
	s_waitcnt lgkmcnt(0)
	s_mul_i32 s1, s8, s3
	s_mul_hi_u32 s20, s8, s2
	s_mul_i32 s9, s9, s2
	s_add_i32 s1, s20, s1
	s_mul_i32 s0, s8, s2
	s_add_i32 s1, s1, s9
	s_lshl_b64 s[0:1], s[0:1], 3
	s_add_u32 s8, s14, s0
	s_addc_u32 s9, s15, s1
	s_lshl_b64 s[0:1], s[4:5], 3
	s_add_u32 s22, s8, s0
	s_addc_u32 s23, s9, s1
	s_mul_i32 s0, s12, s3
	s_mul_hi_u32 s1, s12, s2
	s_add_i32 s0, s1, s0
	s_mul_i32 s1, s13, s2
	s_add_i32 s1, s0, s1
	s_mul_i32 s0, s12, s2
	s_lshl_b64 s[0:1], s[0:1], 3
	s_add_u32 s0, s10, s0
	s_addc_u32 s1, s11, s1
	v_cmp_eq_u32_e64 s[2:3], 0, v2
	v_mbcnt_lo_u32_b32 v2, -1, 0
	s_cmp_gt_i32 s19, 1
	v_mbcnt_hi_u32_b32 v14, -1, v2
	v_mov_b32_e32 v2, 0x80
	s_cselect_b64 s[8:9], -1, 0
	v_cmp_eq_u32_e64 s[4:5], 0, v0
	v_mul_lo_u32 v9, v0, s17
	s_lshl_b32 s24, s17, 9
	v_mov_b32_e32 v11, 0x4018
	v_mov_b32_e32 v12, 0x4028
	v_mov_b32_e32 v13, 0
	v_and_b32_e32 v15, 63, v14
	v_lshl_or_b32 v16, v14, 2, v2
	s_branch .LBB8_6
.LBB8_5:                                ;   in Loop: Header=BB8_6 Depth=1
	s_or_b64 exec, exec, s[12:13]
	s_add_i32 s16, s16, 64
	s_cmp_ge_i32 s16, s18
	s_cbranch_scc1 .LBB8_23
.LBB8_6:                                ; =>This Loop Header: Depth=1
                                        ;     Child Loop BB8_8 Depth 2
                                        ;     Child Loop BB8_22 Depth 2
	s_ashr_i32 s17, s16, 31
	s_lshl_b64 s[10:11], s[16:17], 3
	s_add_u32 s10, s22, s10
	s_addc_u32 s11, s23, s11
	v_mov_b64_e32 v[2:3], 0
	s_and_saveexec_b64 s[12:13], s[6:7]
	s_cbranch_execz .LBB8_10
; %bb.7:                                ;   in Loop: Header=BB8_6 Depth=1
	v_mov_b64_e32 v[2:3], 0
	s_mov_b64 s[14:15], 0
	v_mov_b32_e32 v4, v9
	v_mov_b32_e32 v6, v1
	;; [unrolled: 1-line block ×3, first 2 shown]
.LBB8_8:                                ;   Parent Loop BB8_6 Depth=1
                                        ; =>  This Inner Loop Header: Depth=2
	v_ashrrev_i32_e32 v5, 31, v4
	v_lshl_add_u64 v[18:19], v[4:5], 3, s[10:11]
	global_load_dwordx2 v[18:19], v[18:19], off
	ds_read_b64 v[20:21], v6
	v_add_u32_e32 v7, 0x200, v7
	v_cmp_le_i32_e32 vcc, s19, v7
	v_add_u32_e32 v6, 0x1000, v6
	v_add_u32_e32 v4, s24, v4
	s_or_b64 s[14:15], vcc, s[14:15]
	s_waitcnt vmcnt(0) lgkmcnt(0)
	v_fmac_f64_e32 v[2:3], v[20:21], v[18:19]
	s_andn2_b64 exec, exec, s[14:15]
	s_cbranch_execnz .LBB8_8
; %bb.9:                                ;   in Loop: Header=BB8_6 Depth=1
	s_or_b64 exec, exec, s[14:15]
.LBB8_10:                               ;   in Loop: Header=BB8_6 Depth=1
	s_or_b64 exec, exec, s[12:13]
	s_and_b64 vcc, exec, s[8:9]
	s_cbranch_vccz .LBB8_17
; %bb.11:                               ;   in Loop: Header=BB8_6 Depth=1
	v_cmp_ne_u32_e32 vcc, 63, v15
	s_nop 1
	v_addc_co_u32_e32 v4, vcc, 0, v14, vcc
	v_lshlrev_b32_e32 v5, 2, v4
	ds_bpermute_b32 v4, v5, v2
	ds_bpermute_b32 v5, v5, v3
	v_cmp_gt_u32_e32 vcc, 62, v15
	s_waitcnt lgkmcnt(0)
	v_add_f64 v[4:5], v[2:3], v[4:5]
	v_cndmask_b32_e64 v6, 0, 2, vcc
	v_add_lshl_u32 v7, v6, v14, 2
	ds_bpermute_b32 v6, v7, v4
	ds_bpermute_b32 v7, v7, v5
	v_cmp_gt_u32_e32 vcc, 60, v15
	s_waitcnt lgkmcnt(0)
	v_add_f64 v[4:5], v[4:5], v[6:7]
	v_cndmask_b32_e64 v6, 0, 4, vcc
	v_add_lshl_u32 v7, v6, v14, 2
	ds_bpermute_b32 v6, v7, v4
	ds_bpermute_b32 v7, v7, v5
	v_cmp_gt_u32_e32 vcc, 56, v15
	s_waitcnt lgkmcnt(0)
	v_add_f64 v[4:5], v[4:5], v[6:7]
	v_cndmask_b32_e64 v6, 0, 8, vcc
	v_add_lshl_u32 v7, v6, v14, 2
	ds_bpermute_b32 v6, v7, v4
	ds_bpermute_b32 v7, v7, v5
	v_cmp_gt_u32_e32 vcc, 48, v15
	s_waitcnt lgkmcnt(0)
	v_add_f64 v[4:5], v[4:5], v[6:7]
	v_cndmask_b32_e64 v6, 0, 16, vcc
	v_add_lshl_u32 v7, v6, v14, 2
	ds_bpermute_b32 v6, v7, v4
	ds_bpermute_b32 v7, v7, v5
	s_waitcnt lgkmcnt(0)
	v_add_f64 v[4:5], v[4:5], v[6:7]
	ds_bpermute_b32 v6, v16, v4
	ds_bpermute_b32 v7, v16, v5
	s_waitcnt lgkmcnt(0)
	v_add_f64 v[4:5], v[4:5], v[6:7]
	s_and_saveexec_b64 s[12:13], s[2:3]
; %bb.12:                               ;   in Loop: Header=BB8_6 Depth=1
	ds_write_b64 v8, v[4:5] offset:16384
; %bb.13:                               ;   in Loop: Header=BB8_6 Depth=1
	s_or_b64 exec, exec, s[12:13]
	s_mov_b64 s[14:15], 0
	s_mov_b64 s[12:13], 0
	s_waitcnt lgkmcnt(0)
	s_barrier
                                        ; implicit-def: $vgpr6_vgpr7
	s_and_saveexec_b64 s[20:21], s[4:5]
	s_xor_b64 s[20:21], exec, s[20:21]
	s_cbranch_execz .LBB8_15
; %bb.14:                               ;   in Loop: Header=BB8_6 Depth=1
	ds_read2_b64 v[18:21], v10 offset1:1
	ds_read2_b64 v[22:25], v11 offset1:1
	;; [unrolled: 1-line block ×3, first 2 shown]
	ds_read_b64 v[6:7], v13 offset:16440
	s_mov_b64 s[12:13], exec
	s_waitcnt lgkmcnt(3)
	v_add_f64 v[4:5], v[4:5], v[18:19]
	v_add_f64 v[4:5], v[4:5], v[20:21]
	s_waitcnt lgkmcnt(2)
	v_add_f64 v[4:5], v[4:5], v[22:23]
	v_add_f64 v[4:5], v[4:5], v[24:25]
	;; [unrolled: 3-line block ×3, first 2 shown]
	s_waitcnt lgkmcnt(0)
	v_add_f64 v[6:7], v[4:5], v[6:7]
.LBB8_15:                               ;   in Loop: Header=BB8_6 Depth=1
	s_or_b64 exec, exec, s[20:21]
	s_and_b64 vcc, exec, s[14:15]
	s_cbranch_vccnz .LBB8_18
.LBB8_16:                               ;   in Loop: Header=BB8_6 Depth=1
	v_mov_b64_e32 v[2:3], v[6:7]
	s_and_saveexec_b64 s[14:15], s[12:13]
	s_cbranch_execnz .LBB8_19
	s_branch .LBB8_20
.LBB8_17:                               ;   in Loop: Header=BB8_6 Depth=1
	s_mov_b64 s[12:13], 0
                                        ; implicit-def: $vgpr6_vgpr7
	s_cbranch_execz .LBB8_16
.LBB8_18:                               ;   in Loop: Header=BB8_6 Depth=1
	s_andn2_b64 s[12:13], s[12:13], exec
	s_and_b64 s[14:15], s[4:5], exec
	s_or_b64 s[12:13], s[12:13], s[14:15]
	s_and_saveexec_b64 s[14:15], s[12:13]
.LBB8_19:                               ;   in Loop: Header=BB8_6 Depth=1
	ds_write_b64 v13, v[2:3] offset:16384
.LBB8_20:                               ;   in Loop: Header=BB8_6 Depth=1
	s_or_b64 exec, exec, s[14:15]
	s_waitcnt lgkmcnt(0)
	s_barrier
	s_and_saveexec_b64 s[12:13], s[6:7]
	s_cbranch_execz .LBB8_5
; %bb.21:                               ;   in Loop: Header=BB8_6 Depth=1
	global_load_dwordx2 v[4:5], v13, s[0:1]
	ds_read_b64 v[18:19], v13 offset:16384
	s_mov_b64 s[14:15], 0
	v_mov_b32_e32 v6, v1
	v_mov_b32_e32 v2, v9
	;; [unrolled: 1-line block ×3, first 2 shown]
	s_waitcnt vmcnt(0) lgkmcnt(0)
	v_mul_f64 v[4:5], v[18:19], -v[4:5]
.LBB8_22:                               ;   Parent Loop BB8_6 Depth=1
                                        ; =>  This Inner Loop Header: Depth=2
	v_ashrrev_i32_e32 v3, 31, v2
	v_lshl_add_u64 v[18:19], v[2:3], 3, s[10:11]
	global_load_dwordx2 v[20:21], v[18:19], off
	ds_read_b64 v[22:23], v6
	v_add_u32_e32 v7, 0x200, v7
	v_cmp_le_i32_e32 vcc, s19, v7
	v_add_u32_e32 v6, 0x1000, v6
	v_add_u32_e32 v2, s24, v2
	s_or_b64 s[14:15], vcc, s[14:15]
	s_waitcnt vmcnt(0) lgkmcnt(0)
	v_fmac_f64_e32 v[20:21], v[4:5], v[22:23]
	global_store_dwordx2 v[18:19], v[20:21], off
	s_andn2_b64 exec, exec, s[14:15]
	s_cbranch_execnz .LBB8_22
	s_branch .LBB8_5
.LBB8_23:
	s_endpgm
	.section	.rodata,"a",@progbits
	.p2align	6, 0x0
	.amdhsa_kernel _ZN9rocsolver6v33100L23larf_right_kernel_smallILi512EdiPdEEvT1_S3_T2_lS3_lPKT0_lS4_lS3_l
		.amdhsa_group_segment_fixed_size 16448
		.amdhsa_private_segment_fixed_size 0
		.amdhsa_kernarg_size 88
		.amdhsa_user_sgpr_count 2
		.amdhsa_user_sgpr_dispatch_ptr 0
		.amdhsa_user_sgpr_queue_ptr 0
		.amdhsa_user_sgpr_kernarg_segment_ptr 1
		.amdhsa_user_sgpr_dispatch_id 0
		.amdhsa_user_sgpr_kernarg_preload_length 0
		.amdhsa_user_sgpr_kernarg_preload_offset 0
		.amdhsa_user_sgpr_private_segment_size 0
		.amdhsa_uses_dynamic_stack 0
		.amdhsa_enable_private_segment 0
		.amdhsa_system_sgpr_workgroup_id_x 1
		.amdhsa_system_sgpr_workgroup_id_y 1
		.amdhsa_system_sgpr_workgroup_id_z 0
		.amdhsa_system_sgpr_workgroup_info 0
		.amdhsa_system_vgpr_workitem_id 0
		.amdhsa_next_free_vgpr 30
		.amdhsa_next_free_sgpr 28
		.amdhsa_accum_offset 32
		.amdhsa_reserve_vcc 1
		.amdhsa_float_round_mode_32 0
		.amdhsa_float_round_mode_16_64 0
		.amdhsa_float_denorm_mode_32 3
		.amdhsa_float_denorm_mode_16_64 3
		.amdhsa_dx10_clamp 1
		.amdhsa_ieee_mode 1
		.amdhsa_fp16_overflow 0
		.amdhsa_tg_split 0
		.amdhsa_exception_fp_ieee_invalid_op 0
		.amdhsa_exception_fp_denorm_src 0
		.amdhsa_exception_fp_ieee_div_zero 0
		.amdhsa_exception_fp_ieee_overflow 0
		.amdhsa_exception_fp_ieee_underflow 0
		.amdhsa_exception_fp_ieee_inexact 0
		.amdhsa_exception_int_div_zero 0
	.end_amdhsa_kernel
	.section	.text._ZN9rocsolver6v33100L23larf_right_kernel_smallILi512EdiPdEEvT1_S3_T2_lS3_lPKT0_lS4_lS3_l,"axG",@progbits,_ZN9rocsolver6v33100L23larf_right_kernel_smallILi512EdiPdEEvT1_S3_T2_lS3_lPKT0_lS4_lS3_l,comdat
.Lfunc_end8:
	.size	_ZN9rocsolver6v33100L23larf_right_kernel_smallILi512EdiPdEEvT1_S3_T2_lS3_lPKT0_lS4_lS3_l, .Lfunc_end8-_ZN9rocsolver6v33100L23larf_right_kernel_smallILi512EdiPdEEvT1_S3_T2_lS3_lPKT0_lS4_lS3_l
                                        ; -- End function
	.set _ZN9rocsolver6v33100L23larf_right_kernel_smallILi512EdiPdEEvT1_S3_T2_lS3_lPKT0_lS4_lS3_l.num_vgpr, 30
	.set _ZN9rocsolver6v33100L23larf_right_kernel_smallILi512EdiPdEEvT1_S3_T2_lS3_lPKT0_lS4_lS3_l.num_agpr, 0
	.set _ZN9rocsolver6v33100L23larf_right_kernel_smallILi512EdiPdEEvT1_S3_T2_lS3_lPKT0_lS4_lS3_l.numbered_sgpr, 28
	.set _ZN9rocsolver6v33100L23larf_right_kernel_smallILi512EdiPdEEvT1_S3_T2_lS3_lPKT0_lS4_lS3_l.num_named_barrier, 0
	.set _ZN9rocsolver6v33100L23larf_right_kernel_smallILi512EdiPdEEvT1_S3_T2_lS3_lPKT0_lS4_lS3_l.private_seg_size, 0
	.set _ZN9rocsolver6v33100L23larf_right_kernel_smallILi512EdiPdEEvT1_S3_T2_lS3_lPKT0_lS4_lS3_l.uses_vcc, 1
	.set _ZN9rocsolver6v33100L23larf_right_kernel_smallILi512EdiPdEEvT1_S3_T2_lS3_lPKT0_lS4_lS3_l.uses_flat_scratch, 0
	.set _ZN9rocsolver6v33100L23larf_right_kernel_smallILi512EdiPdEEvT1_S3_T2_lS3_lPKT0_lS4_lS3_l.has_dyn_sized_stack, 0
	.set _ZN9rocsolver6v33100L23larf_right_kernel_smallILi512EdiPdEEvT1_S3_T2_lS3_lPKT0_lS4_lS3_l.has_recursion, 0
	.set _ZN9rocsolver6v33100L23larf_right_kernel_smallILi512EdiPdEEvT1_S3_T2_lS3_lPKT0_lS4_lS3_l.has_indirect_call, 0
	.section	.AMDGPU.csdata,"",@progbits
; Kernel info:
; codeLenInByte = 1252
; TotalNumSgprs: 34
; NumVgprs: 30
; NumAgprs: 0
; TotalNumVgprs: 30
; ScratchSize: 0
; MemoryBound: 0
; FloatMode: 240
; IeeeMode: 1
; LDSByteSize: 16448 bytes/workgroup (compile time only)
; SGPRBlocks: 4
; VGPRBlocks: 3
; NumSGPRsForWavesPerEU: 34
; NumVGPRsForWavesPerEU: 30
; AccumOffset: 32
; Occupancy: 8
; WaveLimiterHint : 0
; COMPUTE_PGM_RSRC2:SCRATCH_EN: 0
; COMPUTE_PGM_RSRC2:USER_SGPR: 2
; COMPUTE_PGM_RSRC2:TRAP_HANDLER: 0
; COMPUTE_PGM_RSRC2:TGID_X_EN: 1
; COMPUTE_PGM_RSRC2:TGID_Y_EN: 1
; COMPUTE_PGM_RSRC2:TGID_Z_EN: 0
; COMPUTE_PGM_RSRC2:TIDIG_COMP_CNT: 0
; COMPUTE_PGM_RSRC3_GFX90A:ACCUM_OFFSET: 7
; COMPUTE_PGM_RSRC3_GFX90A:TG_SPLIT: 0
	.section	.text._ZN9rocsolver6v33100L23larf_right_kernel_smallILi1024EdiPdEEvT1_S3_T2_lS3_lPKT0_lS4_lS3_l,"axG",@progbits,_ZN9rocsolver6v33100L23larf_right_kernel_smallILi1024EdiPdEEvT1_S3_T2_lS3_lPKT0_lS4_lS3_l,comdat
	.globl	_ZN9rocsolver6v33100L23larf_right_kernel_smallILi1024EdiPdEEvT1_S3_T2_lS3_lPKT0_lS4_lS3_l ; -- Begin function _ZN9rocsolver6v33100L23larf_right_kernel_smallILi1024EdiPdEEvT1_S3_T2_lS3_lPKT0_lS4_lS3_l
	.p2align	8
	.type	_ZN9rocsolver6v33100L23larf_right_kernel_smallILi1024EdiPdEEvT1_S3_T2_lS3_lPKT0_lS4_lS3_l,@function
_ZN9rocsolver6v33100L23larf_right_kernel_smallILi1024EdiPdEEvT1_S3_T2_lS3_lPKT0_lS4_lS3_l: ; @_ZN9rocsolver6v33100L23larf_right_kernel_smallILi1024EdiPdEEvT1_S3_T2_lS3_lPKT0_lS4_lS3_l
; %bb.0:
	s_load_dwordx2 s[18:19], s[0:1], 0x0
	s_load_dwordx8 s[8:15], s[0:1], 0x20
	s_load_dwordx2 s[4:5], s[0:1], 0x40
	s_mov_b32 s16, s3
	s_ashr_i32 s3, s2, 31
	s_waitcnt lgkmcnt(0)
	v_cmp_gt_i32_e64 s[6:7], s19, v0
	v_lshlrev_b32_e32 v1, 3, v0
	s_and_saveexec_b64 s[20:21], s[6:7]
	s_cbranch_execz .LBB9_3
; %bb.1:
	s_load_dwordx4 s[24:27], s[0:1], 0x8
	s_load_dword s17, s[0:1], 0x18
	s_mul_i32 s22, s8, s3
	s_mul_hi_u32 s23, s8, s2
	s_add_i32 s22, s23, s22
	s_mul_i32 s9, s9, s2
	s_add_i32 s9, s22, s9
	s_mul_i32 s8, s8, s2
	s_lshl_b64 s[8:9], s[8:9], 3
	s_waitcnt lgkmcnt(0)
	s_add_u32 s22, s24, s8
	s_addc_u32 s23, s25, s9
	s_lshl_b64 s[8:9], s[26:27], 3
	s_add_u32 s8, s22, s8
	s_addc_u32 s9, s23, s9
	s_sub_i32 s22, 1, s19
	s_mul_i32 s22, s17, s22
	s_cmp_lt_i32 s17, 1
	s_cselect_b32 s22, s22, 0
	v_mul_lo_u32 v2, v0, s17
	v_add_u32_e32 v2, s22, v2
	s_lshl_b32 s17, s17, 10
	v_lshlrev_b32_e32 v4, 3, v0
	s_mov_b64 s[22:23], 0
	v_mov_b32_e32 v5, v0
.LBB9_2:                                ; =>This Inner Loop Header: Depth=1
	v_ashrrev_i32_e32 v3, 31, v2
	v_lshl_add_u64 v[6:7], v[2:3], 3, s[8:9]
	global_load_dwordx2 v[6:7], v[6:7], off
	v_add_u32_e32 v5, 0x400, v5
	v_cmp_le_i32_e32 vcc, s19, v5
	v_add_u32_e32 v2, s17, v2
	s_or_b64 s[22:23], vcc, s[22:23]
	s_waitcnt vmcnt(0)
	ds_write_b64 v4, v[6:7]
	v_add_u32_e32 v4, 0x2000, v4
	s_andn2_b64 exec, exec, s[22:23]
	s_cbranch_execnz .LBB9_2
.LBB9_3:
	s_or_b64 exec, exec, s[20:21]
	s_cmp_ge_i32 s16, s18
	s_waitcnt lgkmcnt(0)
	s_barrier
	s_cbranch_scc1 .LBB9_23
; %bb.4:
	s_load_dwordx2 s[8:9], s[0:1], 0x50
	s_load_dword s17, s[0:1], 0x48
	v_and_b32_e32 v2, 63, v0
	v_lshrrev_b32_e32 v8, 3, v0
	v_mov_b32_e32 v10, 0x4008
	s_waitcnt lgkmcnt(0)
	s_mul_i32 s1, s8, s3
	s_mul_hi_u32 s20, s8, s2
	s_mul_i32 s9, s9, s2
	s_add_i32 s1, s20, s1
	s_mul_i32 s0, s8, s2
	s_add_i32 s1, s1, s9
	s_lshl_b64 s[0:1], s[0:1], 3
	s_add_u32 s8, s14, s0
	s_addc_u32 s9, s15, s1
	s_lshl_b64 s[0:1], s[4:5], 3
	s_add_u32 s22, s8, s0
	s_addc_u32 s23, s9, s1
	s_mul_i32 s0, s12, s3
	s_mul_hi_u32 s1, s12, s2
	s_add_i32 s0, s1, s0
	s_mul_i32 s1, s13, s2
	s_add_i32 s1, s0, s1
	s_mul_i32 s0, s12, s2
	s_lshl_b64 s[0:1], s[0:1], 3
	s_add_u32 s0, s10, s0
	s_addc_u32 s1, s11, s1
	v_cmp_eq_u32_e64 s[2:3], 0, v2
	v_mbcnt_lo_u32_b32 v2, -1, 0
	s_cmp_gt_i32 s19, 1
	v_mbcnt_hi_u32_b32 v18, -1, v2
	v_mov_b32_e32 v2, 0x80
	s_cselect_b64 s[8:9], -1, 0
	v_cmp_eq_u32_e64 s[4:5], 0, v0
	v_mul_lo_u32 v9, v0, s17
	s_lshl_b32 s24, s17, 10
	v_mov_b32_e32 v11, 0x4018
	v_mov_b32_e32 v12, 0x4028
	;; [unrolled: 1-line block ×7, first 2 shown]
	v_and_b32_e32 v19, 63, v18
	v_lshl_or_b32 v20, v18, 2, v2
	s_branch .LBB9_6
.LBB9_5:                                ;   in Loop: Header=BB9_6 Depth=1
	s_or_b64 exec, exec, s[12:13]
	s_add_i32 s16, s16, 64
	s_cmp_ge_i32 s16, s18
	s_cbranch_scc1 .LBB9_23
.LBB9_6:                                ; =>This Loop Header: Depth=1
                                        ;     Child Loop BB9_8 Depth 2
                                        ;     Child Loop BB9_22 Depth 2
	s_ashr_i32 s17, s16, 31
	s_lshl_b64 s[10:11], s[16:17], 3
	s_add_u32 s10, s22, s10
	s_addc_u32 s11, s23, s11
	v_mov_b64_e32 v[2:3], 0
	s_and_saveexec_b64 s[12:13], s[6:7]
	s_cbranch_execz .LBB9_10
; %bb.7:                                ;   in Loop: Header=BB9_6 Depth=1
	v_mov_b64_e32 v[2:3], 0
	s_mov_b64 s[14:15], 0
	v_mov_b32_e32 v4, v9
	v_mov_b32_e32 v6, v1
	;; [unrolled: 1-line block ×3, first 2 shown]
.LBB9_8:                                ;   Parent Loop BB9_6 Depth=1
                                        ; =>  This Inner Loop Header: Depth=2
	v_ashrrev_i32_e32 v5, 31, v4
	v_lshl_add_u64 v[22:23], v[4:5], 3, s[10:11]
	global_load_dwordx2 v[22:23], v[22:23], off
	ds_read_b64 v[24:25], v6
	v_add_u32_e32 v7, 0x400, v7
	v_cmp_le_i32_e32 vcc, s19, v7
	v_add_u32_e32 v6, 0x2000, v6
	v_add_u32_e32 v4, s24, v4
	s_or_b64 s[14:15], vcc, s[14:15]
	s_waitcnt vmcnt(0) lgkmcnt(0)
	v_fmac_f64_e32 v[2:3], v[24:25], v[22:23]
	s_andn2_b64 exec, exec, s[14:15]
	s_cbranch_execnz .LBB9_8
; %bb.9:                                ;   in Loop: Header=BB9_6 Depth=1
	s_or_b64 exec, exec, s[14:15]
.LBB9_10:                               ;   in Loop: Header=BB9_6 Depth=1
	s_or_b64 exec, exec, s[12:13]
	s_and_b64 vcc, exec, s[8:9]
	s_cbranch_vccz .LBB9_17
; %bb.11:                               ;   in Loop: Header=BB9_6 Depth=1
	v_cmp_ne_u32_e32 vcc, 63, v19
	s_nop 1
	v_addc_co_u32_e32 v4, vcc, 0, v18, vcc
	v_lshlrev_b32_e32 v5, 2, v4
	ds_bpermute_b32 v4, v5, v2
	ds_bpermute_b32 v5, v5, v3
	v_cmp_gt_u32_e32 vcc, 62, v19
	s_waitcnt lgkmcnt(0)
	v_add_f64 v[4:5], v[2:3], v[4:5]
	v_cndmask_b32_e64 v6, 0, 2, vcc
	v_add_lshl_u32 v7, v6, v18, 2
	ds_bpermute_b32 v6, v7, v4
	ds_bpermute_b32 v7, v7, v5
	v_cmp_gt_u32_e32 vcc, 60, v19
	s_waitcnt lgkmcnt(0)
	v_add_f64 v[4:5], v[4:5], v[6:7]
	v_cndmask_b32_e64 v6, 0, 4, vcc
	v_add_lshl_u32 v7, v6, v18, 2
	;; [unrolled: 7-line block ×4, first 2 shown]
	ds_bpermute_b32 v6, v7, v4
	ds_bpermute_b32 v7, v7, v5
	s_waitcnt lgkmcnt(0)
	v_add_f64 v[4:5], v[4:5], v[6:7]
	ds_bpermute_b32 v6, v20, v4
	ds_bpermute_b32 v7, v20, v5
	s_waitcnt lgkmcnt(0)
	v_add_f64 v[4:5], v[4:5], v[6:7]
	s_and_saveexec_b64 s[12:13], s[2:3]
; %bb.12:                               ;   in Loop: Header=BB9_6 Depth=1
	ds_write_b64 v8, v[4:5] offset:16384
; %bb.13:                               ;   in Loop: Header=BB9_6 Depth=1
	s_or_b64 exec, exec, s[12:13]
	s_mov_b64 s[14:15], 0
	s_mov_b64 s[12:13], 0
	s_waitcnt lgkmcnt(0)
	s_barrier
                                        ; implicit-def: $vgpr6_vgpr7
	s_and_saveexec_b64 s[20:21], s[4:5]
	s_xor_b64 s[20:21], exec, s[20:21]
	s_cbranch_execz .LBB9_15
; %bb.14:                               ;   in Loop: Header=BB9_6 Depth=1
	ds_read2_b64 v[22:25], v10 offset1:1
	ds_read2_b64 v[26:29], v11 offset1:1
	;; [unrolled: 1-line block ×4, first 2 shown]
	s_mov_b64 s[12:13], exec
	s_waitcnt lgkmcnt(3)
	v_add_f64 v[4:5], v[4:5], v[22:23]
	v_add_f64 v[4:5], v[4:5], v[24:25]
	s_waitcnt lgkmcnt(2)
	v_add_f64 v[4:5], v[4:5], v[26:27]
	v_add_f64 v[4:5], v[4:5], v[28:29]
	s_waitcnt lgkmcnt(1)
	v_add_f64 v[22:23], v[4:5], v[30:31]
	ds_read2_b64 v[4:7], v14 offset1:1
	v_add_f64 v[22:23], v[22:23], v[32:33]
	s_waitcnt lgkmcnt(1)
	v_add_f64 v[22:23], v[22:23], v[34:35]
	v_add_f64 v[26:27], v[22:23], v[36:37]
	ds_read2_b64 v[22:25], v15 offset1:1
	s_waitcnt lgkmcnt(1)
	v_add_f64 v[4:5], v[26:27], v[4:5]
	ds_read2_b64 v[26:29], v16 offset1:1
	v_add_f64 v[4:5], v[4:5], v[6:7]
	ds_read_b64 v[6:7], v17 offset:16504
	s_waitcnt lgkmcnt(2)
	v_add_f64 v[4:5], v[4:5], v[22:23]
	v_add_f64 v[4:5], v[4:5], v[24:25]
	s_waitcnt lgkmcnt(1)
	v_add_f64 v[4:5], v[4:5], v[26:27]
	v_add_f64 v[4:5], v[4:5], v[28:29]
	s_waitcnt lgkmcnt(0)
	v_add_f64 v[6:7], v[4:5], v[6:7]
.LBB9_15:                               ;   in Loop: Header=BB9_6 Depth=1
	s_or_b64 exec, exec, s[20:21]
	s_and_b64 vcc, exec, s[14:15]
	s_cbranch_vccnz .LBB9_18
.LBB9_16:                               ;   in Loop: Header=BB9_6 Depth=1
	v_mov_b64_e32 v[2:3], v[6:7]
	s_and_saveexec_b64 s[14:15], s[12:13]
	s_cbranch_execnz .LBB9_19
	s_branch .LBB9_20
.LBB9_17:                               ;   in Loop: Header=BB9_6 Depth=1
	s_mov_b64 s[12:13], 0
                                        ; implicit-def: $vgpr6_vgpr7
	s_cbranch_execz .LBB9_16
.LBB9_18:                               ;   in Loop: Header=BB9_6 Depth=1
	s_andn2_b64 s[12:13], s[12:13], exec
	s_and_b64 s[14:15], s[4:5], exec
	s_or_b64 s[12:13], s[12:13], s[14:15]
	s_and_saveexec_b64 s[14:15], s[12:13]
.LBB9_19:                               ;   in Loop: Header=BB9_6 Depth=1
	ds_write_b64 v17, v[2:3] offset:16384
.LBB9_20:                               ;   in Loop: Header=BB9_6 Depth=1
	s_or_b64 exec, exec, s[14:15]
	s_waitcnt lgkmcnt(0)
	s_barrier
	s_and_saveexec_b64 s[12:13], s[6:7]
	s_cbranch_execz .LBB9_5
; %bb.21:                               ;   in Loop: Header=BB9_6 Depth=1
	global_load_dwordx2 v[4:5], v17, s[0:1]
	ds_read_b64 v[22:23], v17 offset:16384
	s_mov_b64 s[14:15], 0
	v_mov_b32_e32 v6, v1
	v_mov_b32_e32 v2, v9
	;; [unrolled: 1-line block ×3, first 2 shown]
	s_waitcnt vmcnt(0) lgkmcnt(0)
	v_mul_f64 v[4:5], v[22:23], -v[4:5]
.LBB9_22:                               ;   Parent Loop BB9_6 Depth=1
                                        ; =>  This Inner Loop Header: Depth=2
	v_ashrrev_i32_e32 v3, 31, v2
	v_lshl_add_u64 v[22:23], v[2:3], 3, s[10:11]
	global_load_dwordx2 v[24:25], v[22:23], off
	ds_read_b64 v[26:27], v6
	v_add_u32_e32 v7, 0x400, v7
	v_cmp_le_i32_e32 vcc, s19, v7
	v_add_u32_e32 v6, 0x2000, v6
	v_add_u32_e32 v2, s24, v2
	s_or_b64 s[14:15], vcc, s[14:15]
	s_waitcnt vmcnt(0) lgkmcnt(0)
	v_fmac_f64_e32 v[24:25], v[4:5], v[26:27]
	global_store_dwordx2 v[22:23], v[24:25], off
	s_andn2_b64 exec, exec, s[14:15]
	s_cbranch_execnz .LBB9_22
	s_branch .LBB9_5
.LBB9_23:
	s_endpgm
	.section	.rodata,"a",@progbits
	.p2align	6, 0x0
	.amdhsa_kernel _ZN9rocsolver6v33100L23larf_right_kernel_smallILi1024EdiPdEEvT1_S3_T2_lS3_lPKT0_lS4_lS3_l
		.amdhsa_group_segment_fixed_size 16512
		.amdhsa_private_segment_fixed_size 0
		.amdhsa_kernarg_size 88
		.amdhsa_user_sgpr_count 2
		.amdhsa_user_sgpr_dispatch_ptr 0
		.amdhsa_user_sgpr_queue_ptr 0
		.amdhsa_user_sgpr_kernarg_segment_ptr 1
		.amdhsa_user_sgpr_dispatch_id 0
		.amdhsa_user_sgpr_kernarg_preload_length 0
		.amdhsa_user_sgpr_kernarg_preload_offset 0
		.amdhsa_user_sgpr_private_segment_size 0
		.amdhsa_uses_dynamic_stack 0
		.amdhsa_enable_private_segment 0
		.amdhsa_system_sgpr_workgroup_id_x 1
		.amdhsa_system_sgpr_workgroup_id_y 1
		.amdhsa_system_sgpr_workgroup_id_z 0
		.amdhsa_system_sgpr_workgroup_info 0
		.amdhsa_system_vgpr_workitem_id 0
		.amdhsa_next_free_vgpr 38
		.amdhsa_next_free_sgpr 28
		.amdhsa_accum_offset 40
		.amdhsa_reserve_vcc 1
		.amdhsa_float_round_mode_32 0
		.amdhsa_float_round_mode_16_64 0
		.amdhsa_float_denorm_mode_32 3
		.amdhsa_float_denorm_mode_16_64 3
		.amdhsa_dx10_clamp 1
		.amdhsa_ieee_mode 1
		.amdhsa_fp16_overflow 0
		.amdhsa_tg_split 0
		.amdhsa_exception_fp_ieee_invalid_op 0
		.amdhsa_exception_fp_denorm_src 0
		.amdhsa_exception_fp_ieee_div_zero 0
		.amdhsa_exception_fp_ieee_overflow 0
		.amdhsa_exception_fp_ieee_underflow 0
		.amdhsa_exception_fp_ieee_inexact 0
		.amdhsa_exception_int_div_zero 0
	.end_amdhsa_kernel
	.section	.text._ZN9rocsolver6v33100L23larf_right_kernel_smallILi1024EdiPdEEvT1_S3_T2_lS3_lPKT0_lS4_lS3_l,"axG",@progbits,_ZN9rocsolver6v33100L23larf_right_kernel_smallILi1024EdiPdEEvT1_S3_T2_lS3_lPKT0_lS4_lS3_l,comdat
.Lfunc_end9:
	.size	_ZN9rocsolver6v33100L23larf_right_kernel_smallILi1024EdiPdEEvT1_S3_T2_lS3_lPKT0_lS4_lS3_l, .Lfunc_end9-_ZN9rocsolver6v33100L23larf_right_kernel_smallILi1024EdiPdEEvT1_S3_T2_lS3_lPKT0_lS4_lS3_l
                                        ; -- End function
	.set _ZN9rocsolver6v33100L23larf_right_kernel_smallILi1024EdiPdEEvT1_S3_T2_lS3_lPKT0_lS4_lS3_l.num_vgpr, 38
	.set _ZN9rocsolver6v33100L23larf_right_kernel_smallILi1024EdiPdEEvT1_S3_T2_lS3_lPKT0_lS4_lS3_l.num_agpr, 0
	.set _ZN9rocsolver6v33100L23larf_right_kernel_smallILi1024EdiPdEEvT1_S3_T2_lS3_lPKT0_lS4_lS3_l.numbered_sgpr, 28
	.set _ZN9rocsolver6v33100L23larf_right_kernel_smallILi1024EdiPdEEvT1_S3_T2_lS3_lPKT0_lS4_lS3_l.num_named_barrier, 0
	.set _ZN9rocsolver6v33100L23larf_right_kernel_smallILi1024EdiPdEEvT1_S3_T2_lS3_lPKT0_lS4_lS3_l.private_seg_size, 0
	.set _ZN9rocsolver6v33100L23larf_right_kernel_smallILi1024EdiPdEEvT1_S3_T2_lS3_lPKT0_lS4_lS3_l.uses_vcc, 1
	.set _ZN9rocsolver6v33100L23larf_right_kernel_smallILi1024EdiPdEEvT1_S3_T2_lS3_lPKT0_lS4_lS3_l.uses_flat_scratch, 0
	.set _ZN9rocsolver6v33100L23larf_right_kernel_smallILi1024EdiPdEEvT1_S3_T2_lS3_lPKT0_lS4_lS3_l.has_dyn_sized_stack, 0
	.set _ZN9rocsolver6v33100L23larf_right_kernel_smallILi1024EdiPdEEvT1_S3_T2_lS3_lPKT0_lS4_lS3_l.has_recursion, 0
	.set _ZN9rocsolver6v33100L23larf_right_kernel_smallILi1024EdiPdEEvT1_S3_T2_lS3_lPKT0_lS4_lS3_l.has_indirect_call, 0
	.section	.AMDGPU.csdata,"",@progbits
; Kernel info:
; codeLenInByte = 1396
; TotalNumSgprs: 34
; NumVgprs: 38
; NumAgprs: 0
; TotalNumVgprs: 38
; ScratchSize: 0
; MemoryBound: 0
; FloatMode: 240
; IeeeMode: 1
; LDSByteSize: 16512 bytes/workgroup (compile time only)
; SGPRBlocks: 4
; VGPRBlocks: 4
; NumSGPRsForWavesPerEU: 34
; NumVGPRsForWavesPerEU: 38
; AccumOffset: 40
; Occupancy: 8
; WaveLimiterHint : 0
; COMPUTE_PGM_RSRC2:SCRATCH_EN: 0
; COMPUTE_PGM_RSRC2:USER_SGPR: 2
; COMPUTE_PGM_RSRC2:TRAP_HANDLER: 0
; COMPUTE_PGM_RSRC2:TGID_X_EN: 1
; COMPUTE_PGM_RSRC2:TGID_Y_EN: 1
; COMPUTE_PGM_RSRC2:TGID_Z_EN: 0
; COMPUTE_PGM_RSRC2:TIDIG_COMP_CNT: 0
; COMPUTE_PGM_RSRC3_GFX90A:ACCUM_OFFSET: 9
; COMPUTE_PGM_RSRC3_GFX90A:TG_SPLIT: 0
	.section	.text._ZN9rocsolver6v33100L22larf_left_kernel_smallILi64EdiPKPdEEvT1_S5_T2_lS5_lPKT0_lS6_lS5_l,"axG",@progbits,_ZN9rocsolver6v33100L22larf_left_kernel_smallILi64EdiPKPdEEvT1_S5_T2_lS5_lPKT0_lS6_lS5_l,comdat
	.globl	_ZN9rocsolver6v33100L22larf_left_kernel_smallILi64EdiPKPdEEvT1_S5_T2_lS5_lPKT0_lS6_lS5_l ; -- Begin function _ZN9rocsolver6v33100L22larf_left_kernel_smallILi64EdiPKPdEEvT1_S5_T2_lS5_lPKT0_lS6_lS5_l
	.p2align	8
	.type	_ZN9rocsolver6v33100L22larf_left_kernel_smallILi64EdiPKPdEEvT1_S5_T2_lS5_lPKT0_lS6_lS5_l,@function
_ZN9rocsolver6v33100L22larf_left_kernel_smallILi64EdiPKPdEEvT1_S5_T2_lS5_lPKT0_lS6_lS5_l: ; @_ZN9rocsolver6v33100L22larf_left_kernel_smallILi64EdiPKPdEEvT1_S5_T2_lS5_lPKT0_lS6_lS5_l
; %bb.0:
	s_load_dwordx8 s[8:15], s[0:1], 0x28
	s_load_dwordx2 s[16:17], s[0:1], 0x0
	s_mov_b32 s6, s3
	s_ashr_i32 s3, s2, 31
	s_lshl_b64 s[20:21], s[2:3], 3
	s_waitcnt lgkmcnt(0)
	s_add_u32 s4, s12, s20
	s_addc_u32 s5, s13, s21
	s_load_dwordx2 s[12:13], s[4:5], 0x0
	v_cmp_gt_i32_e64 s[4:5], s16, v0
	v_lshlrev_b32_e32 v2, 3, v0
	s_and_saveexec_b64 s[18:19], s[4:5]
	s_cbranch_execz .LBB10_3
; %bb.1:
	s_load_dwordx4 s[24:27], s[0:1], 0x8
	s_load_dword s7, s[0:1], 0x18
	v_lshlrev_b32_e32 v1, 3, v0
	s_waitcnt lgkmcnt(0)
	s_add_u32 s20, s24, s20
	s_addc_u32 s21, s25, s21
	s_load_dwordx2 s[22:23], s[20:21], 0x0
	s_lshl_b64 s[24:25], s[26:27], 3
	v_mul_lo_u32 v3, v0, s7
	s_mov_b64 s[20:21], 0
	s_waitcnt lgkmcnt(0)
	s_add_u32 s22, s22, s24
	s_addc_u32 s23, s23, s25
	s_sub_i32 s24, 1, s16
	s_mul_i32 s24, s7, s24
	s_cmp_lt_i32 s7, 1
	s_cselect_b32 s24, s24, 0
	s_lshl_b32 s7, s7, 6
	v_add_u32_e32 v4, s24, v3
	v_mov_b32_e32 v3, v0
.LBB10_2:                               ; =>This Inner Loop Header: Depth=1
	v_ashrrev_i32_e32 v5, 31, v4
	v_lshl_add_u64 v[6:7], v[4:5], 3, s[22:23]
	flat_load_dwordx2 v[6:7], v[6:7]
	v_add_u32_e32 v3, 64, v3
	v_cmp_le_i32_e32 vcc, s16, v3
	v_add_u32_e32 v4, s7, v4
	s_or_b64 s[20:21], vcc, s[20:21]
	s_waitcnt vmcnt(0) lgkmcnt(0)
	ds_write_b64 v1, v[6:7]
	v_add_u32_e32 v1, 0x200, v1
	s_andn2_b64 exec, exec, s[20:21]
	s_cbranch_execnz .LBB10_2
.LBB10_3:
	s_or_b64 exec, exec, s[18:19]
	s_cmp_ge_i32 s6, s17
	s_waitcnt lgkmcnt(0)
	; wave barrier
	s_cbranch_scc1 .LBB10_21
; %bb.4:
	s_load_dword s7, s[0:1], 0x48
	s_mul_i32 s0, s10, s3
	s_mul_hi_u32 s1, s10, s2
	s_add_i32 s0, s1, s0
	s_mul_i32 s1, s11, s2
	s_add_i32 s1, s0, s1
	s_mul_i32 s0, s10, s2
	s_lshl_b64 s[0:1], s[0:1], 3
	s_add_u32 s0, s8, s0
	s_addc_u32 s1, s9, s1
	s_cmp_gt_i32 s16, 1
	s_cselect_b64 s[2:3], -1, 0
	s_lshl_b64 s[10:11], s[14:15], 3
	s_add_u32 s10, s12, s10
	v_mbcnt_lo_u32_b32 v6, -1, 0
	v_mov_b32_e32 v3, 0
	s_addc_u32 s11, s13, s11
	v_mbcnt_hi_u32_b32 v12, -1, v6
	v_mov_b32_e32 v6, 0x80
	v_cmp_eq_u32_e64 s[8:9], 0, v0
	v_lshrrev_b32_e32 v1, 3, v0
	v_lshl_add_u64 v[4:5], s[10:11], 0, v[2:3]
	s_waitcnt lgkmcnt(0)
	s_mul_i32 s10, s6, s7
	s_lshl_b32 s7, s7, 6
	s_mov_b64 s[12:13], 0x200
	v_and_b32_e32 v13, 63, v12
	v_lshl_or_b32 v14, v12, 2, v6
	s_branch .LBB10_6
.LBB10_5:                               ;   in Loop: Header=BB10_6 Depth=1
	s_or_b64 exec, exec, s[14:15]
	s_add_i32 s6, s6, 64
	s_add_i32 s10, s10, s7
	s_cmp_ge_i32 s6, s17
	s_cbranch_scc1 .LBB10_21
.LBB10_6:                               ; =>This Loop Header: Depth=1
                                        ;     Child Loop BB10_8 Depth 2
                                        ;     Child Loop BB10_20 Depth 2
	s_ashr_i32 s11, s10, 31
	v_lshl_add_u64 v[6:7], s[10:11], 3, v[4:5]
	v_mov_b64_e32 v[8:9], 0
	s_and_saveexec_b64 s[14:15], s[4:5]
	s_cbranch_execz .LBB10_10
; %bb.7:                                ;   in Loop: Header=BB10_6 Depth=1
	v_mov_b64_e32 v[8:9], 0
	s_mov_b64 s[18:19], 0
	v_mov_b64_e32 v[10:11], v[6:7]
	v_mov_b32_e32 v15, v2
	v_mov_b32_e32 v16, v0
.LBB10_8:                               ;   Parent Loop BB10_6 Depth=1
                                        ; =>  This Inner Loop Header: Depth=2
	flat_load_dwordx2 v[18:19], v[10:11]
	ds_read_b64 v[20:21], v15
	v_add_u32_e32 v16, 64, v16
	v_cmp_le_i32_e32 vcc, s16, v16
	v_add_u32_e32 v15, 0x200, v15
	v_lshl_add_u64 v[10:11], v[10:11], 0, s[12:13]
	s_or_b64 s[18:19], vcc, s[18:19]
	s_waitcnt vmcnt(0) lgkmcnt(0)
	v_fmac_f64_e32 v[8:9], v[20:21], v[18:19]
	s_andn2_b64 exec, exec, s[18:19]
	s_cbranch_execnz .LBB10_8
; %bb.9:                                ;   in Loop: Header=BB10_6 Depth=1
	s_or_b64 exec, exec, s[18:19]
.LBB10_10:                              ;   in Loop: Header=BB10_6 Depth=1
	s_or_b64 exec, exec, s[14:15]
	s_and_b64 vcc, exec, s[2:3]
	s_cbranch_vccz .LBB10_15
; %bb.11:                               ;   in Loop: Header=BB10_6 Depth=1
	v_cmp_ne_u32_e32 vcc, 63, v13
	s_nop 1
	v_addc_co_u32_e32 v10, vcc, 0, v12, vcc
	v_lshlrev_b32_e32 v11, 2, v10
	ds_bpermute_b32 v10, v11, v8
	ds_bpermute_b32 v11, v11, v9
	v_cmp_gt_u32_e32 vcc, 62, v13
	s_waitcnt lgkmcnt(0)
	v_add_f64 v[10:11], v[8:9], v[10:11]
	v_cndmask_b32_e64 v15, 0, 2, vcc
	v_add_lshl_u32 v15, v15, v12, 2
	ds_bpermute_b32 v16, v15, v10
	ds_bpermute_b32 v17, v15, v11
	v_cmp_gt_u32_e32 vcc, 60, v13
	s_waitcnt lgkmcnt(0)
	v_add_f64 v[10:11], v[10:11], v[16:17]
	v_cndmask_b32_e64 v15, 0, 4, vcc
	v_add_lshl_u32 v15, v15, v12, 2
	;; [unrolled: 7-line block ×4, first 2 shown]
	ds_bpermute_b32 v16, v15, v10
	ds_bpermute_b32 v17, v15, v11
	s_waitcnt lgkmcnt(0)
	v_add_f64 v[10:11], v[10:11], v[16:17]
	ds_bpermute_b32 v16, v14, v10
	ds_bpermute_b32 v17, v14, v11
	s_waitcnt lgkmcnt(0)
	v_add_f64 v[10:11], v[10:11], v[16:17]
	s_and_saveexec_b64 s[14:15], s[8:9]
; %bb.12:                               ;   in Loop: Header=BB10_6 Depth=1
	ds_write_b64 v1, v[10:11] offset:16384
; %bb.13:                               ;   in Loop: Header=BB10_6 Depth=1
	s_or_b64 exec, exec, s[14:15]
	s_waitcnt lgkmcnt(0)
	; wave barrier
	s_mov_b64 s[14:15], s[8:9]
.LBB10_14:                              ;   in Loop: Header=BB10_6 Depth=1
	v_mov_b64_e32 v[8:9], v[10:11]
	s_and_saveexec_b64 s[18:19], s[14:15]
	s_cbranch_execnz .LBB10_17
	s_branch .LBB10_18
.LBB10_15:                              ;   in Loop: Header=BB10_6 Depth=1
	s_mov_b64 s[14:15], 0
                                        ; implicit-def: $vgpr10_vgpr11
	s_cbranch_execz .LBB10_14
; %bb.16:                               ;   in Loop: Header=BB10_6 Depth=1
	s_andn2_b64 s[14:15], s[14:15], exec
	s_and_b64 s[18:19], s[8:9], exec
	s_or_b64 s[14:15], s[14:15], s[18:19]
	s_and_saveexec_b64 s[18:19], s[14:15]
.LBB10_17:                              ;   in Loop: Header=BB10_6 Depth=1
	ds_write_b64 v3, v[8:9] offset:16384
.LBB10_18:                              ;   in Loop: Header=BB10_6 Depth=1
	s_or_b64 exec, exec, s[18:19]
	s_waitcnt lgkmcnt(0)
	; wave barrier
	s_and_saveexec_b64 s[14:15], s[4:5]
	s_cbranch_execz .LBB10_5
; %bb.19:                               ;   in Loop: Header=BB10_6 Depth=1
	global_load_dwordx2 v[8:9], v3, s[0:1]
	ds_read_b64 v[16:17], v3 offset:16384
	s_mov_b64 s[18:19], 0
	v_mov_b32_e32 v10, v2
	v_mov_b32_e32 v11, v0
	s_waitcnt vmcnt(0) lgkmcnt(0)
	v_mul_f64 v[8:9], v[16:17], -v[8:9]
.LBB10_20:                              ;   Parent Loop BB10_6 Depth=1
                                        ; =>  This Inner Loop Header: Depth=2
	flat_load_dwordx2 v[16:17], v[6:7]
	ds_read_b64 v[18:19], v10
	v_add_u32_e32 v11, 64, v11
	v_cmp_le_i32_e32 vcc, s16, v11
	s_or_b64 s[18:19], vcc, s[18:19]
	v_add_u32_e32 v10, 0x200, v10
	s_waitcnt vmcnt(0) lgkmcnt(0)
	v_fmac_f64_e32 v[16:17], v[8:9], v[18:19]
	flat_store_dwordx2 v[6:7], v[16:17]
	v_lshl_add_u64 v[6:7], v[6:7], 0, s[12:13]
	s_andn2_b64 exec, exec, s[18:19]
	s_cbranch_execnz .LBB10_20
	s_branch .LBB10_5
.LBB10_21:
	s_endpgm
	.section	.rodata,"a",@progbits
	.p2align	6, 0x0
	.amdhsa_kernel _ZN9rocsolver6v33100L22larf_left_kernel_smallILi64EdiPKPdEEvT1_S5_T2_lS5_lPKT0_lS6_lS5_l
		.amdhsa_group_segment_fixed_size 16896
		.amdhsa_private_segment_fixed_size 0
		.amdhsa_kernarg_size 88
		.amdhsa_user_sgpr_count 2
		.amdhsa_user_sgpr_dispatch_ptr 0
		.amdhsa_user_sgpr_queue_ptr 0
		.amdhsa_user_sgpr_kernarg_segment_ptr 1
		.amdhsa_user_sgpr_dispatch_id 0
		.amdhsa_user_sgpr_kernarg_preload_length 0
		.amdhsa_user_sgpr_kernarg_preload_offset 0
		.amdhsa_user_sgpr_private_segment_size 0
		.amdhsa_uses_dynamic_stack 0
		.amdhsa_enable_private_segment 0
		.amdhsa_system_sgpr_workgroup_id_x 1
		.amdhsa_system_sgpr_workgroup_id_y 1
		.amdhsa_system_sgpr_workgroup_id_z 0
		.amdhsa_system_sgpr_workgroup_info 0
		.amdhsa_system_vgpr_workitem_id 0
		.amdhsa_next_free_vgpr 129
		.amdhsa_next_free_sgpr 96
		.amdhsa_accum_offset 24
		.amdhsa_reserve_vcc 1
		.amdhsa_float_round_mode_32 0
		.amdhsa_float_round_mode_16_64 0
		.amdhsa_float_denorm_mode_32 3
		.amdhsa_float_denorm_mode_16_64 3
		.amdhsa_dx10_clamp 1
		.amdhsa_ieee_mode 1
		.amdhsa_fp16_overflow 0
		.amdhsa_tg_split 0
		.amdhsa_exception_fp_ieee_invalid_op 0
		.amdhsa_exception_fp_denorm_src 0
		.amdhsa_exception_fp_ieee_div_zero 0
		.amdhsa_exception_fp_ieee_overflow 0
		.amdhsa_exception_fp_ieee_underflow 0
		.amdhsa_exception_fp_ieee_inexact 0
		.amdhsa_exception_int_div_zero 0
	.end_amdhsa_kernel
	.section	.text._ZN9rocsolver6v33100L22larf_left_kernel_smallILi64EdiPKPdEEvT1_S5_T2_lS5_lPKT0_lS6_lS5_l,"axG",@progbits,_ZN9rocsolver6v33100L22larf_left_kernel_smallILi64EdiPKPdEEvT1_S5_T2_lS5_lPKT0_lS6_lS5_l,comdat
.Lfunc_end10:
	.size	_ZN9rocsolver6v33100L22larf_left_kernel_smallILi64EdiPKPdEEvT1_S5_T2_lS5_lPKT0_lS6_lS5_l, .Lfunc_end10-_ZN9rocsolver6v33100L22larf_left_kernel_smallILi64EdiPKPdEEvT1_S5_T2_lS5_lPKT0_lS6_lS5_l
                                        ; -- End function
	.set _ZN9rocsolver6v33100L22larf_left_kernel_smallILi64EdiPKPdEEvT1_S5_T2_lS5_lPKT0_lS6_lS5_l.num_vgpr, 22
	.set _ZN9rocsolver6v33100L22larf_left_kernel_smallILi64EdiPKPdEEvT1_S5_T2_lS5_lPKT0_lS6_lS5_l.num_agpr, 0
	.set _ZN9rocsolver6v33100L22larf_left_kernel_smallILi64EdiPKPdEEvT1_S5_T2_lS5_lPKT0_lS6_lS5_l.numbered_sgpr, 28
	.set _ZN9rocsolver6v33100L22larf_left_kernel_smallILi64EdiPKPdEEvT1_S5_T2_lS5_lPKT0_lS6_lS5_l.num_named_barrier, 0
	.set _ZN9rocsolver6v33100L22larf_left_kernel_smallILi64EdiPKPdEEvT1_S5_T2_lS5_lPKT0_lS6_lS5_l.private_seg_size, 0
	.set _ZN9rocsolver6v33100L22larf_left_kernel_smallILi64EdiPKPdEEvT1_S5_T2_lS5_lPKT0_lS6_lS5_l.uses_vcc, 1
	.set _ZN9rocsolver6v33100L22larf_left_kernel_smallILi64EdiPKPdEEvT1_S5_T2_lS5_lPKT0_lS6_lS5_l.uses_flat_scratch, 0
	.set _ZN9rocsolver6v33100L22larf_left_kernel_smallILi64EdiPKPdEEvT1_S5_T2_lS5_lPKT0_lS6_lS5_l.has_dyn_sized_stack, 0
	.set _ZN9rocsolver6v33100L22larf_left_kernel_smallILi64EdiPKPdEEvT1_S5_T2_lS5_lPKT0_lS6_lS5_l.has_recursion, 0
	.set _ZN9rocsolver6v33100L22larf_left_kernel_smallILi64EdiPKPdEEvT1_S5_T2_lS5_lPKT0_lS6_lS5_l.has_indirect_call, 0
	.section	.AMDGPU.csdata,"",@progbits
; Kernel info:
; codeLenInByte = 1000
; TotalNumSgprs: 34
; NumVgprs: 22
; NumAgprs: 0
; TotalNumVgprs: 22
; ScratchSize: 0
; MemoryBound: 0
; FloatMode: 240
; IeeeMode: 1
; LDSByteSize: 16896 bytes/workgroup (compile time only)
; SGPRBlocks: 12
; VGPRBlocks: 16
; NumSGPRsForWavesPerEU: 102
; NumVGPRsForWavesPerEU: 129
; AccumOffset: 24
; Occupancy: 3
; WaveLimiterHint : 1
; COMPUTE_PGM_RSRC2:SCRATCH_EN: 0
; COMPUTE_PGM_RSRC2:USER_SGPR: 2
; COMPUTE_PGM_RSRC2:TRAP_HANDLER: 0
; COMPUTE_PGM_RSRC2:TGID_X_EN: 1
; COMPUTE_PGM_RSRC2:TGID_Y_EN: 1
; COMPUTE_PGM_RSRC2:TGID_Z_EN: 0
; COMPUTE_PGM_RSRC2:TIDIG_COMP_CNT: 0
; COMPUTE_PGM_RSRC3_GFX90A:ACCUM_OFFSET: 5
; COMPUTE_PGM_RSRC3_GFX90A:TG_SPLIT: 0
	.section	.text._ZN9rocsolver6v33100L22larf_left_kernel_smallILi128EdiPKPdEEvT1_S5_T2_lS5_lPKT0_lS6_lS5_l,"axG",@progbits,_ZN9rocsolver6v33100L22larf_left_kernel_smallILi128EdiPKPdEEvT1_S5_T2_lS5_lPKT0_lS6_lS5_l,comdat
	.globl	_ZN9rocsolver6v33100L22larf_left_kernel_smallILi128EdiPKPdEEvT1_S5_T2_lS5_lPKT0_lS6_lS5_l ; -- Begin function _ZN9rocsolver6v33100L22larf_left_kernel_smallILi128EdiPKPdEEvT1_S5_T2_lS5_lPKT0_lS6_lS5_l
	.p2align	8
	.type	_ZN9rocsolver6v33100L22larf_left_kernel_smallILi128EdiPKPdEEvT1_S5_T2_lS5_lPKT0_lS6_lS5_l,@function
_ZN9rocsolver6v33100L22larf_left_kernel_smallILi128EdiPKPdEEvT1_S5_T2_lS5_lPKT0_lS6_lS5_l: ; @_ZN9rocsolver6v33100L22larf_left_kernel_smallILi128EdiPKPdEEvT1_S5_T2_lS5_lPKT0_lS6_lS5_l
; %bb.0:
	s_load_dwordx8 s[12:19], s[0:1], 0x28
	s_load_dwordx2 s[10:11], s[0:1], 0x0
	s_mov_b32 s8, s3
	s_ashr_i32 s3, s2, 31
	s_lshl_b64 s[20:21], s[2:3], 3
	s_waitcnt lgkmcnt(0)
	s_add_u32 s4, s16, s20
	s_addc_u32 s5, s17, s21
	s_load_dwordx2 s[16:17], s[4:5], 0x0
	v_cmp_gt_i32_e64 s[6:7], s10, v0
	v_lshlrev_b32_e32 v2, 3, v0
	s_and_saveexec_b64 s[4:5], s[6:7]
	s_cbranch_execz .LBB11_3
; %bb.1:
	s_load_dwordx4 s[24:27], s[0:1], 0x8
	s_load_dword s9, s[0:1], 0x18
	v_lshlrev_b32_e32 v1, 3, v0
	s_waitcnt lgkmcnt(0)
	s_add_u32 s20, s24, s20
	s_addc_u32 s21, s25, s21
	s_load_dwordx2 s[22:23], s[20:21], 0x0
	s_lshl_b64 s[24:25], s[26:27], 3
	v_mul_lo_u32 v3, v0, s9
	s_mov_b64 s[20:21], 0
	s_waitcnt lgkmcnt(0)
	s_add_u32 s22, s22, s24
	s_addc_u32 s23, s23, s25
	s_sub_i32 s24, 1, s10
	s_mul_i32 s24, s9, s24
	s_cmp_lt_i32 s9, 1
	s_cselect_b32 s24, s24, 0
	s_lshl_b32 s9, s9, 7
	v_add_u32_e32 v4, s24, v3
	v_mov_b32_e32 v3, v0
.LBB11_2:                               ; =>This Inner Loop Header: Depth=1
	v_ashrrev_i32_e32 v5, 31, v4
	v_lshl_add_u64 v[6:7], v[4:5], 3, s[22:23]
	flat_load_dwordx2 v[6:7], v[6:7]
	v_add_u32_e32 v3, 0x80, v3
	v_cmp_le_i32_e32 vcc, s10, v3
	v_add_u32_e32 v4, s9, v4
	s_or_b64 s[20:21], vcc, s[20:21]
	s_waitcnt vmcnt(0) lgkmcnt(0)
	ds_write_b64 v1, v[6:7]
	v_add_u32_e32 v1, 0x400, v1
	s_andn2_b64 exec, exec, s[20:21]
	s_cbranch_execnz .LBB11_2
.LBB11_3:
	s_or_b64 exec, exec, s[4:5]
	s_cmp_ge_i32 s8, s11
	s_waitcnt lgkmcnt(0)
	s_barrier
	s_cbranch_scc1 .LBB11_23
; %bb.4:
	s_load_dword s9, s[0:1], 0x48
	s_mul_i32 s0, s14, s3
	s_mul_hi_u32 s1, s14, s2
	s_add_i32 s0, s1, s0
	s_mul_i32 s1, s15, s2
	s_add_i32 s1, s0, s1
	s_mul_i32 s0, s14, s2
	s_lshl_b64 s[0:1], s[0:1], 3
	s_add_u32 s0, s12, s0
	s_addc_u32 s1, s13, s1
	s_cmp_gt_i32 s10, 1
	s_cselect_b64 s[12:13], -1, 0
	s_lshl_b64 s[14:15], s[18:19], 3
	s_add_u32 s14, s16, s14
	v_mbcnt_lo_u32_b32 v6, -1, 0
	v_and_b32_e32 v1, 63, v0
	v_mov_b32_e32 v3, 0
	s_addc_u32 s15, s17, s15
	v_mbcnt_hi_u32_b32 v14, -1, v6
	v_mov_b32_e32 v6, 0x80
	v_cmp_eq_u32_e64 s[2:3], 0, v1
	v_lshrrev_b32_e32 v1, 3, v0
	v_cmp_eq_u32_e64 s[4:5], 0, v0
	v_lshl_add_u64 v[4:5], s[14:15], 0, v[2:3]
	s_waitcnt lgkmcnt(0)
	s_mul_i32 s14, s8, s9
	s_lshl_b32 s9, s9, 6
	s_mov_b64 s[16:17], 0x400
	v_and_b32_e32 v15, 63, v14
	v_lshl_or_b32 v16, v14, 2, v6
	s_branch .LBB11_6
.LBB11_5:                               ;   in Loop: Header=BB11_6 Depth=1
	s_or_b64 exec, exec, s[18:19]
	s_add_i32 s8, s8, 64
	s_add_i32 s14, s14, s9
	s_cmp_ge_i32 s8, s11
	s_cbranch_scc1 .LBB11_23
.LBB11_6:                               ; =>This Loop Header: Depth=1
                                        ;     Child Loop BB11_8 Depth 2
                                        ;     Child Loop BB11_22 Depth 2
	s_ashr_i32 s15, s14, 31
	v_lshl_add_u64 v[6:7], s[14:15], 3, v[4:5]
	v_mov_b64_e32 v[8:9], 0
	s_and_saveexec_b64 s[18:19], s[6:7]
	s_cbranch_execz .LBB11_10
; %bb.7:                                ;   in Loop: Header=BB11_6 Depth=1
	v_mov_b64_e32 v[8:9], 0
	s_mov_b64 s[20:21], 0
	v_mov_b64_e32 v[10:11], v[6:7]
	v_mov_b32_e32 v12, v2
	v_mov_b32_e32 v13, v0
.LBB11_8:                               ;   Parent Loop BB11_6 Depth=1
                                        ; =>  This Inner Loop Header: Depth=2
	flat_load_dwordx2 v[18:19], v[10:11]
	ds_read_b64 v[20:21], v12
	v_add_u32_e32 v13, 0x80, v13
	v_cmp_le_i32_e32 vcc, s10, v13
	v_add_u32_e32 v12, 0x400, v12
	v_lshl_add_u64 v[10:11], v[10:11], 0, s[16:17]
	s_or_b64 s[20:21], vcc, s[20:21]
	s_waitcnt vmcnt(0) lgkmcnt(0)
	v_fmac_f64_e32 v[8:9], v[20:21], v[18:19]
	s_andn2_b64 exec, exec, s[20:21]
	s_cbranch_execnz .LBB11_8
; %bb.9:                                ;   in Loop: Header=BB11_6 Depth=1
	s_or_b64 exec, exec, s[20:21]
.LBB11_10:                              ;   in Loop: Header=BB11_6 Depth=1
	s_or_b64 exec, exec, s[18:19]
	s_and_b64 vcc, exec, s[12:13]
	s_cbranch_vccz .LBB11_17
; %bb.11:                               ;   in Loop: Header=BB11_6 Depth=1
	v_cmp_ne_u32_e32 vcc, 63, v15
	s_nop 1
	v_addc_co_u32_e32 v10, vcc, 0, v14, vcc
	v_lshlrev_b32_e32 v11, 2, v10
	ds_bpermute_b32 v10, v11, v8
	ds_bpermute_b32 v11, v11, v9
	v_cmp_gt_u32_e32 vcc, 62, v15
	s_waitcnt lgkmcnt(0)
	v_add_f64 v[10:11], v[8:9], v[10:11]
	v_cndmask_b32_e64 v12, 0, 2, vcc
	v_add_lshl_u32 v13, v12, v14, 2
	ds_bpermute_b32 v12, v13, v10
	ds_bpermute_b32 v13, v13, v11
	v_cmp_gt_u32_e32 vcc, 60, v15
	s_waitcnt lgkmcnt(0)
	v_add_f64 v[10:11], v[10:11], v[12:13]
	v_cndmask_b32_e64 v12, 0, 4, vcc
	v_add_lshl_u32 v13, v12, v14, 2
	;; [unrolled: 7-line block ×4, first 2 shown]
	ds_bpermute_b32 v12, v13, v10
	ds_bpermute_b32 v13, v13, v11
	s_waitcnt lgkmcnt(0)
	v_add_f64 v[10:11], v[10:11], v[12:13]
	ds_bpermute_b32 v12, v16, v10
	ds_bpermute_b32 v13, v16, v11
	s_waitcnt lgkmcnt(0)
	v_add_f64 v[12:13], v[10:11], v[12:13]
	s_and_saveexec_b64 s[18:19], s[2:3]
; %bb.12:                               ;   in Loop: Header=BB11_6 Depth=1
	ds_write_b64 v1, v[12:13] offset:16384
; %bb.13:                               ;   in Loop: Header=BB11_6 Depth=1
	s_or_b64 exec, exec, s[18:19]
	s_mov_b64 s[20:21], 0
	s_mov_b64 s[18:19], 0
	s_waitcnt lgkmcnt(0)
	s_barrier
                                        ; implicit-def: $vgpr10_vgpr11
	s_and_saveexec_b64 s[22:23], s[4:5]
	s_xor_b64 s[22:23], exec, s[22:23]
	s_cbranch_execz .LBB11_15
; %bb.14:                               ;   in Loop: Header=BB11_6 Depth=1
	ds_read_b64 v[10:11], v3 offset:16392
	s_mov_b64 s[18:19], exec
	s_waitcnt lgkmcnt(0)
	v_add_f64 v[10:11], v[12:13], v[10:11]
.LBB11_15:                              ;   in Loop: Header=BB11_6 Depth=1
	s_or_b64 exec, exec, s[22:23]
	s_and_b64 vcc, exec, s[20:21]
	s_cbranch_vccnz .LBB11_18
.LBB11_16:                              ;   in Loop: Header=BB11_6 Depth=1
	v_mov_b64_e32 v[8:9], v[10:11]
	s_and_saveexec_b64 s[20:21], s[18:19]
	s_cbranch_execnz .LBB11_19
	s_branch .LBB11_20
.LBB11_17:                              ;   in Loop: Header=BB11_6 Depth=1
	s_mov_b64 s[18:19], 0
                                        ; implicit-def: $vgpr10_vgpr11
	s_cbranch_execz .LBB11_16
.LBB11_18:                              ;   in Loop: Header=BB11_6 Depth=1
	s_andn2_b64 s[18:19], s[18:19], exec
	s_and_b64 s[20:21], s[4:5], exec
	s_or_b64 s[18:19], s[18:19], s[20:21]
	s_and_saveexec_b64 s[20:21], s[18:19]
.LBB11_19:                              ;   in Loop: Header=BB11_6 Depth=1
	ds_write_b64 v3, v[8:9] offset:16384
.LBB11_20:                              ;   in Loop: Header=BB11_6 Depth=1
	s_or_b64 exec, exec, s[20:21]
	s_waitcnt lgkmcnt(0)
	s_barrier
	s_and_saveexec_b64 s[18:19], s[6:7]
	s_cbranch_execz .LBB11_5
; %bb.21:                               ;   in Loop: Header=BB11_6 Depth=1
	global_load_dwordx2 v[8:9], v3, s[0:1]
	ds_read_b64 v[12:13], v3 offset:16384
	s_mov_b64 s[20:21], 0
	v_mov_b32_e32 v10, v2
	v_mov_b32_e32 v11, v0
	s_waitcnt vmcnt(0) lgkmcnt(0)
	v_mul_f64 v[8:9], v[12:13], -v[8:9]
.LBB11_22:                              ;   Parent Loop BB11_6 Depth=1
                                        ; =>  This Inner Loop Header: Depth=2
	flat_load_dwordx2 v[12:13], v[6:7]
	ds_read_b64 v[18:19], v10
	v_add_u32_e32 v11, 0x80, v11
	v_cmp_le_i32_e32 vcc, s10, v11
	s_or_b64 s[20:21], vcc, s[20:21]
	v_add_u32_e32 v10, 0x400, v10
	s_waitcnt vmcnt(0) lgkmcnt(0)
	v_fmac_f64_e32 v[12:13], v[8:9], v[18:19]
	flat_store_dwordx2 v[6:7], v[12:13]
	v_lshl_add_u64 v[6:7], v[6:7], 0, s[16:17]
	s_andn2_b64 exec, exec, s[20:21]
	s_cbranch_execnz .LBB11_22
	s_branch .LBB11_5
.LBB11_23:
	s_endpgm
	.section	.rodata,"a",@progbits
	.p2align	6, 0x0
	.amdhsa_kernel _ZN9rocsolver6v33100L22larf_left_kernel_smallILi128EdiPKPdEEvT1_S5_T2_lS5_lPKT0_lS6_lS5_l
		.amdhsa_group_segment_fixed_size 17408
		.amdhsa_private_segment_fixed_size 0
		.amdhsa_kernarg_size 88
		.amdhsa_user_sgpr_count 2
		.amdhsa_user_sgpr_dispatch_ptr 0
		.amdhsa_user_sgpr_queue_ptr 0
		.amdhsa_user_sgpr_kernarg_segment_ptr 1
		.amdhsa_user_sgpr_dispatch_id 0
		.amdhsa_user_sgpr_kernarg_preload_length 0
		.amdhsa_user_sgpr_kernarg_preload_offset 0
		.amdhsa_user_sgpr_private_segment_size 0
		.amdhsa_uses_dynamic_stack 0
		.amdhsa_enable_private_segment 0
		.amdhsa_system_sgpr_workgroup_id_x 1
		.amdhsa_system_sgpr_workgroup_id_y 1
		.amdhsa_system_sgpr_workgroup_id_z 0
		.amdhsa_system_sgpr_workgroup_info 0
		.amdhsa_system_vgpr_workitem_id 0
		.amdhsa_next_free_vgpr 81
		.amdhsa_next_free_sgpr 96
		.amdhsa_accum_offset 24
		.amdhsa_reserve_vcc 1
		.amdhsa_float_round_mode_32 0
		.amdhsa_float_round_mode_16_64 0
		.amdhsa_float_denorm_mode_32 3
		.amdhsa_float_denorm_mode_16_64 3
		.amdhsa_dx10_clamp 1
		.amdhsa_ieee_mode 1
		.amdhsa_fp16_overflow 0
		.amdhsa_tg_split 0
		.amdhsa_exception_fp_ieee_invalid_op 0
		.amdhsa_exception_fp_denorm_src 0
		.amdhsa_exception_fp_ieee_div_zero 0
		.amdhsa_exception_fp_ieee_overflow 0
		.amdhsa_exception_fp_ieee_underflow 0
		.amdhsa_exception_fp_ieee_inexact 0
		.amdhsa_exception_int_div_zero 0
	.end_amdhsa_kernel
	.section	.text._ZN9rocsolver6v33100L22larf_left_kernel_smallILi128EdiPKPdEEvT1_S5_T2_lS5_lPKT0_lS6_lS5_l,"axG",@progbits,_ZN9rocsolver6v33100L22larf_left_kernel_smallILi128EdiPKPdEEvT1_S5_T2_lS5_lPKT0_lS6_lS5_l,comdat
.Lfunc_end11:
	.size	_ZN9rocsolver6v33100L22larf_left_kernel_smallILi128EdiPKPdEEvT1_S5_T2_lS5_lPKT0_lS6_lS5_l, .Lfunc_end11-_ZN9rocsolver6v33100L22larf_left_kernel_smallILi128EdiPKPdEEvT1_S5_T2_lS5_lPKT0_lS6_lS5_l
                                        ; -- End function
	.set _ZN9rocsolver6v33100L22larf_left_kernel_smallILi128EdiPKPdEEvT1_S5_T2_lS5_lPKT0_lS6_lS5_l.num_vgpr, 22
	.set _ZN9rocsolver6v33100L22larf_left_kernel_smallILi128EdiPKPdEEvT1_S5_T2_lS5_lPKT0_lS6_lS5_l.num_agpr, 0
	.set _ZN9rocsolver6v33100L22larf_left_kernel_smallILi128EdiPKPdEEvT1_S5_T2_lS5_lPKT0_lS6_lS5_l.numbered_sgpr, 28
	.set _ZN9rocsolver6v33100L22larf_left_kernel_smallILi128EdiPKPdEEvT1_S5_T2_lS5_lPKT0_lS6_lS5_l.num_named_barrier, 0
	.set _ZN9rocsolver6v33100L22larf_left_kernel_smallILi128EdiPKPdEEvT1_S5_T2_lS5_lPKT0_lS6_lS5_l.private_seg_size, 0
	.set _ZN9rocsolver6v33100L22larf_left_kernel_smallILi128EdiPKPdEEvT1_S5_T2_lS5_lPKT0_lS6_lS5_l.uses_vcc, 1
	.set _ZN9rocsolver6v33100L22larf_left_kernel_smallILi128EdiPKPdEEvT1_S5_T2_lS5_lPKT0_lS6_lS5_l.uses_flat_scratch, 0
	.set _ZN9rocsolver6v33100L22larf_left_kernel_smallILi128EdiPKPdEEvT1_S5_T2_lS5_lPKT0_lS6_lS5_l.has_dyn_sized_stack, 0
	.set _ZN9rocsolver6v33100L22larf_left_kernel_smallILi128EdiPKPdEEvT1_S5_T2_lS5_lPKT0_lS6_lS5_l.has_recursion, 0
	.set _ZN9rocsolver6v33100L22larf_left_kernel_smallILi128EdiPKPdEEvT1_S5_T2_lS5_lPKT0_lS6_lS5_l.has_indirect_call, 0
	.section	.AMDGPU.csdata,"",@progbits
; Kernel info:
; codeLenInByte = 1088
; TotalNumSgprs: 34
; NumVgprs: 22
; NumAgprs: 0
; TotalNumVgprs: 22
; ScratchSize: 0
; MemoryBound: 0
; FloatMode: 240
; IeeeMode: 1
; LDSByteSize: 17408 bytes/workgroup (compile time only)
; SGPRBlocks: 12
; VGPRBlocks: 10
; NumSGPRsForWavesPerEU: 102
; NumVGPRsForWavesPerEU: 81
; AccumOffset: 24
; Occupancy: 5
; WaveLimiterHint : 1
; COMPUTE_PGM_RSRC2:SCRATCH_EN: 0
; COMPUTE_PGM_RSRC2:USER_SGPR: 2
; COMPUTE_PGM_RSRC2:TRAP_HANDLER: 0
; COMPUTE_PGM_RSRC2:TGID_X_EN: 1
; COMPUTE_PGM_RSRC2:TGID_Y_EN: 1
; COMPUTE_PGM_RSRC2:TGID_Z_EN: 0
; COMPUTE_PGM_RSRC2:TIDIG_COMP_CNT: 0
; COMPUTE_PGM_RSRC3_GFX90A:ACCUM_OFFSET: 5
; COMPUTE_PGM_RSRC3_GFX90A:TG_SPLIT: 0
	.section	.text._ZN9rocsolver6v33100L22larf_left_kernel_smallILi256EdiPKPdEEvT1_S5_T2_lS5_lPKT0_lS6_lS5_l,"axG",@progbits,_ZN9rocsolver6v33100L22larf_left_kernel_smallILi256EdiPKPdEEvT1_S5_T2_lS5_lPKT0_lS6_lS5_l,comdat
	.globl	_ZN9rocsolver6v33100L22larf_left_kernel_smallILi256EdiPKPdEEvT1_S5_T2_lS5_lPKT0_lS6_lS5_l ; -- Begin function _ZN9rocsolver6v33100L22larf_left_kernel_smallILi256EdiPKPdEEvT1_S5_T2_lS5_lPKT0_lS6_lS5_l
	.p2align	8
	.type	_ZN9rocsolver6v33100L22larf_left_kernel_smallILi256EdiPKPdEEvT1_S5_T2_lS5_lPKT0_lS6_lS5_l,@function
_ZN9rocsolver6v33100L22larf_left_kernel_smallILi256EdiPKPdEEvT1_S5_T2_lS5_lPKT0_lS6_lS5_l: ; @_ZN9rocsolver6v33100L22larf_left_kernel_smallILi256EdiPKPdEEvT1_S5_T2_lS5_lPKT0_lS6_lS5_l
; %bb.0:
	s_load_dwordx8 s[12:19], s[0:1], 0x28
	s_load_dwordx2 s[10:11], s[0:1], 0x0
	s_mov_b32 s8, s3
	s_ashr_i32 s3, s2, 31
	s_lshl_b64 s[20:21], s[2:3], 3
	s_waitcnt lgkmcnt(0)
	s_add_u32 s4, s16, s20
	s_addc_u32 s5, s17, s21
	s_load_dwordx2 s[16:17], s[4:5], 0x0
	v_cmp_gt_i32_e64 s[6:7], s10, v0
	v_lshlrev_b32_e32 v2, 3, v0
	s_and_saveexec_b64 s[4:5], s[6:7]
	s_cbranch_execz .LBB12_3
; %bb.1:
	s_load_dwordx4 s[24:27], s[0:1], 0x8
	s_load_dword s9, s[0:1], 0x18
	v_lshlrev_b32_e32 v1, 3, v0
	s_waitcnt lgkmcnt(0)
	s_add_u32 s20, s24, s20
	s_addc_u32 s21, s25, s21
	s_load_dwordx2 s[22:23], s[20:21], 0x0
	s_lshl_b64 s[24:25], s[26:27], 3
	v_mul_lo_u32 v3, v0, s9
	s_mov_b64 s[20:21], 0
	s_waitcnt lgkmcnt(0)
	s_add_u32 s22, s22, s24
	s_addc_u32 s23, s23, s25
	s_sub_i32 s24, 1, s10
	s_mul_i32 s24, s9, s24
	s_cmp_lt_i32 s9, 1
	s_cselect_b32 s24, s24, 0
	s_lshl_b32 s9, s9, 8
	v_add_u32_e32 v4, s24, v3
	v_mov_b32_e32 v3, v0
.LBB12_2:                               ; =>This Inner Loop Header: Depth=1
	v_ashrrev_i32_e32 v5, 31, v4
	v_lshl_add_u64 v[6:7], v[4:5], 3, s[22:23]
	flat_load_dwordx2 v[6:7], v[6:7]
	v_add_u32_e32 v3, 0x100, v3
	v_cmp_le_i32_e32 vcc, s10, v3
	v_add_u32_e32 v4, s9, v4
	s_or_b64 s[20:21], vcc, s[20:21]
	s_waitcnt vmcnt(0) lgkmcnt(0)
	ds_write_b64 v1, v[6:7]
	v_add_u32_e32 v1, 0x800, v1
	s_andn2_b64 exec, exec, s[20:21]
	s_cbranch_execnz .LBB12_2
.LBB12_3:
	s_or_b64 exec, exec, s[4:5]
	s_cmp_ge_i32 s8, s11
	s_waitcnt lgkmcnt(0)
	s_barrier
	s_cbranch_scc1 .LBB12_23
; %bb.4:
	s_load_dword s9, s[0:1], 0x48
	s_mul_i32 s0, s14, s3
	s_mul_hi_u32 s1, s14, s2
	s_add_i32 s0, s1, s0
	s_mul_i32 s1, s15, s2
	s_add_i32 s1, s0, s1
	s_mul_i32 s0, s14, s2
	s_lshl_b64 s[0:1], s[0:1], 3
	s_add_u32 s0, s12, s0
	s_addc_u32 s1, s13, s1
	s_cmp_gt_i32 s10, 1
	s_cselect_b64 s[12:13], -1, 0
	s_lshl_b64 s[14:15], s[18:19], 3
	s_add_u32 s14, s16, s14
	v_mbcnt_lo_u32_b32 v6, -1, 0
	v_and_b32_e32 v1, 63, v0
	v_mov_b32_e32 v3, 0
	s_addc_u32 s15, s17, s15
	v_mbcnt_hi_u32_b32 v15, -1, v6
	v_mov_b32_e32 v6, 0x80
	v_cmp_eq_u32_e64 s[2:3], 0, v1
	v_lshrrev_b32_e32 v1, 3, v0
	v_cmp_eq_u32_e64 s[4:5], 0, v0
	v_lshl_add_u64 v[4:5], s[14:15], 0, v[2:3]
	s_waitcnt lgkmcnt(0)
	s_mul_i32 s14, s8, s9
	s_lshl_b32 s9, s9, 6
	s_mov_b64 s[16:17], 0x800
	v_mov_b32_e32 v14, 0x4008
	v_and_b32_e32 v16, 63, v15
	v_lshl_or_b32 v17, v15, 2, v6
	s_branch .LBB12_6
.LBB12_5:                               ;   in Loop: Header=BB12_6 Depth=1
	s_or_b64 exec, exec, s[18:19]
	s_add_i32 s8, s8, 64
	s_add_i32 s14, s14, s9
	s_cmp_ge_i32 s8, s11
	s_cbranch_scc1 .LBB12_23
.LBB12_6:                               ; =>This Loop Header: Depth=1
                                        ;     Child Loop BB12_8 Depth 2
                                        ;     Child Loop BB12_22 Depth 2
	s_ashr_i32 s15, s14, 31
	v_lshl_add_u64 v[6:7], s[14:15], 3, v[4:5]
	v_mov_b64_e32 v[8:9], 0
	s_and_saveexec_b64 s[18:19], s[6:7]
	s_cbranch_execz .LBB12_10
; %bb.7:                                ;   in Loop: Header=BB12_6 Depth=1
	v_mov_b64_e32 v[8:9], 0
	s_mov_b64 s[20:21], 0
	v_mov_b64_e32 v[10:11], v[6:7]
	v_mov_b32_e32 v12, v2
	v_mov_b32_e32 v13, v0
.LBB12_8:                               ;   Parent Loop BB12_6 Depth=1
                                        ; =>  This Inner Loop Header: Depth=2
	flat_load_dwordx2 v[18:19], v[10:11]
	ds_read_b64 v[20:21], v12
	v_add_u32_e32 v13, 0x100, v13
	v_cmp_le_i32_e32 vcc, s10, v13
	v_add_u32_e32 v12, 0x800, v12
	v_lshl_add_u64 v[10:11], v[10:11], 0, s[16:17]
	s_or_b64 s[20:21], vcc, s[20:21]
	s_waitcnt vmcnt(0) lgkmcnt(0)
	v_fmac_f64_e32 v[8:9], v[20:21], v[18:19]
	s_andn2_b64 exec, exec, s[20:21]
	s_cbranch_execnz .LBB12_8
; %bb.9:                                ;   in Loop: Header=BB12_6 Depth=1
	s_or_b64 exec, exec, s[20:21]
.LBB12_10:                              ;   in Loop: Header=BB12_6 Depth=1
	s_or_b64 exec, exec, s[18:19]
	s_and_b64 vcc, exec, s[12:13]
	s_cbranch_vccz .LBB12_17
; %bb.11:                               ;   in Loop: Header=BB12_6 Depth=1
	v_cmp_ne_u32_e32 vcc, 63, v16
	s_nop 1
	v_addc_co_u32_e32 v10, vcc, 0, v15, vcc
	v_lshlrev_b32_e32 v11, 2, v10
	ds_bpermute_b32 v10, v11, v8
	ds_bpermute_b32 v11, v11, v9
	v_cmp_gt_u32_e32 vcc, 62, v16
	s_waitcnt lgkmcnt(0)
	v_add_f64 v[10:11], v[8:9], v[10:11]
	v_cndmask_b32_e64 v12, 0, 2, vcc
	v_add_lshl_u32 v13, v12, v15, 2
	ds_bpermute_b32 v12, v13, v10
	ds_bpermute_b32 v13, v13, v11
	v_cmp_gt_u32_e32 vcc, 60, v16
	s_waitcnt lgkmcnt(0)
	v_add_f64 v[10:11], v[10:11], v[12:13]
	v_cndmask_b32_e64 v12, 0, 4, vcc
	v_add_lshl_u32 v13, v12, v15, 2
	;; [unrolled: 7-line block ×4, first 2 shown]
	ds_bpermute_b32 v12, v13, v10
	ds_bpermute_b32 v13, v13, v11
	s_waitcnt lgkmcnt(0)
	v_add_f64 v[10:11], v[10:11], v[12:13]
	ds_bpermute_b32 v12, v17, v10
	ds_bpermute_b32 v13, v17, v11
	s_waitcnt lgkmcnt(0)
	v_add_f64 v[10:11], v[10:11], v[12:13]
	s_and_saveexec_b64 s[18:19], s[2:3]
; %bb.12:                               ;   in Loop: Header=BB12_6 Depth=1
	ds_write_b64 v1, v[10:11] offset:16384
; %bb.13:                               ;   in Loop: Header=BB12_6 Depth=1
	s_or_b64 exec, exec, s[18:19]
	s_mov_b64 s[20:21], 0
	s_mov_b64 s[18:19], 0
	s_waitcnt lgkmcnt(0)
	s_barrier
                                        ; implicit-def: $vgpr12_vgpr13
	s_and_saveexec_b64 s[22:23], s[4:5]
	s_xor_b64 s[22:23], exec, s[22:23]
	s_cbranch_execz .LBB12_15
; %bb.14:                               ;   in Loop: Header=BB12_6 Depth=1
	ds_read2_b64 v[18:21], v14 offset1:1
	ds_read_b64 v[12:13], v3 offset:16408
	s_mov_b64 s[18:19], exec
	s_waitcnt lgkmcnt(0)
	v_add_f64 v[10:11], v[10:11], v[18:19]
	v_add_f64 v[10:11], v[10:11], v[20:21]
	s_waitcnt lgkmcnt(0)
	v_add_f64 v[12:13], v[10:11], v[12:13]
.LBB12_15:                              ;   in Loop: Header=BB12_6 Depth=1
	s_or_b64 exec, exec, s[22:23]
	s_and_b64 vcc, exec, s[20:21]
	s_cbranch_vccnz .LBB12_18
.LBB12_16:                              ;   in Loop: Header=BB12_6 Depth=1
	v_mov_b64_e32 v[8:9], v[12:13]
	s_and_saveexec_b64 s[20:21], s[18:19]
	s_cbranch_execnz .LBB12_19
	s_branch .LBB12_20
.LBB12_17:                              ;   in Loop: Header=BB12_6 Depth=1
	s_mov_b64 s[18:19], 0
                                        ; implicit-def: $vgpr12_vgpr13
	s_cbranch_execz .LBB12_16
.LBB12_18:                              ;   in Loop: Header=BB12_6 Depth=1
	s_andn2_b64 s[18:19], s[18:19], exec
	s_and_b64 s[20:21], s[4:5], exec
	s_or_b64 s[18:19], s[18:19], s[20:21]
	s_and_saveexec_b64 s[20:21], s[18:19]
.LBB12_19:                              ;   in Loop: Header=BB12_6 Depth=1
	ds_write_b64 v3, v[8:9] offset:16384
.LBB12_20:                              ;   in Loop: Header=BB12_6 Depth=1
	s_or_b64 exec, exec, s[20:21]
	s_waitcnt lgkmcnt(0)
	s_barrier
	s_and_saveexec_b64 s[18:19], s[6:7]
	s_cbranch_execz .LBB12_5
; %bb.21:                               ;   in Loop: Header=BB12_6 Depth=1
	global_load_dwordx2 v[8:9], v3, s[0:1]
	ds_read_b64 v[12:13], v3 offset:16384
	s_mov_b64 s[20:21], 0
	v_mov_b32_e32 v10, v2
	v_mov_b32_e32 v11, v0
	s_waitcnt vmcnt(0) lgkmcnt(0)
	v_mul_f64 v[8:9], v[12:13], -v[8:9]
.LBB12_22:                              ;   Parent Loop BB12_6 Depth=1
                                        ; =>  This Inner Loop Header: Depth=2
	flat_load_dwordx2 v[12:13], v[6:7]
	ds_read_b64 v[18:19], v10
	v_add_u32_e32 v11, 0x100, v11
	v_cmp_le_i32_e32 vcc, s10, v11
	s_or_b64 s[20:21], vcc, s[20:21]
	v_add_u32_e32 v10, 0x800, v10
	s_waitcnt vmcnt(0) lgkmcnt(0)
	v_fmac_f64_e32 v[12:13], v[8:9], v[18:19]
	flat_store_dwordx2 v[6:7], v[12:13]
	v_lshl_add_u64 v[6:7], v[6:7], 0, s[16:17]
	s_andn2_b64 exec, exec, s[20:21]
	s_cbranch_execnz .LBB12_22
	s_branch .LBB12_5
.LBB12_23:
	s_endpgm
	.section	.rodata,"a",@progbits
	.p2align	6, 0x0
	.amdhsa_kernel _ZN9rocsolver6v33100L22larf_left_kernel_smallILi256EdiPKPdEEvT1_S5_T2_lS5_lPKT0_lS6_lS5_l
		.amdhsa_group_segment_fixed_size 18432
		.amdhsa_private_segment_fixed_size 0
		.amdhsa_kernarg_size 88
		.amdhsa_user_sgpr_count 2
		.amdhsa_user_sgpr_dispatch_ptr 0
		.amdhsa_user_sgpr_queue_ptr 0
		.amdhsa_user_sgpr_kernarg_segment_ptr 1
		.amdhsa_user_sgpr_dispatch_id 0
		.amdhsa_user_sgpr_kernarg_preload_length 0
		.amdhsa_user_sgpr_kernarg_preload_offset 0
		.amdhsa_user_sgpr_private_segment_size 0
		.amdhsa_uses_dynamic_stack 0
		.amdhsa_enable_private_segment 0
		.amdhsa_system_sgpr_workgroup_id_x 1
		.amdhsa_system_sgpr_workgroup_id_y 1
		.amdhsa_system_sgpr_workgroup_id_z 0
		.amdhsa_system_sgpr_workgroup_info 0
		.amdhsa_system_vgpr_workitem_id 0
		.amdhsa_next_free_vgpr 22
		.amdhsa_next_free_sgpr 28
		.amdhsa_accum_offset 24
		.amdhsa_reserve_vcc 1
		.amdhsa_float_round_mode_32 0
		.amdhsa_float_round_mode_16_64 0
		.amdhsa_float_denorm_mode_32 3
		.amdhsa_float_denorm_mode_16_64 3
		.amdhsa_dx10_clamp 1
		.amdhsa_ieee_mode 1
		.amdhsa_fp16_overflow 0
		.amdhsa_tg_split 0
		.amdhsa_exception_fp_ieee_invalid_op 0
		.amdhsa_exception_fp_denorm_src 0
		.amdhsa_exception_fp_ieee_div_zero 0
		.amdhsa_exception_fp_ieee_overflow 0
		.amdhsa_exception_fp_ieee_underflow 0
		.amdhsa_exception_fp_ieee_inexact 0
		.amdhsa_exception_int_div_zero 0
	.end_amdhsa_kernel
	.section	.text._ZN9rocsolver6v33100L22larf_left_kernel_smallILi256EdiPKPdEEvT1_S5_T2_lS5_lPKT0_lS6_lS5_l,"axG",@progbits,_ZN9rocsolver6v33100L22larf_left_kernel_smallILi256EdiPKPdEEvT1_S5_T2_lS5_lPKT0_lS6_lS5_l,comdat
.Lfunc_end12:
	.size	_ZN9rocsolver6v33100L22larf_left_kernel_smallILi256EdiPKPdEEvT1_S5_T2_lS5_lPKT0_lS6_lS5_l, .Lfunc_end12-_ZN9rocsolver6v33100L22larf_left_kernel_smallILi256EdiPKPdEEvT1_S5_T2_lS5_lPKT0_lS6_lS5_l
                                        ; -- End function
	.set _ZN9rocsolver6v33100L22larf_left_kernel_smallILi256EdiPKPdEEvT1_S5_T2_lS5_lPKT0_lS6_lS5_l.num_vgpr, 22
	.set _ZN9rocsolver6v33100L22larf_left_kernel_smallILi256EdiPKPdEEvT1_S5_T2_lS5_lPKT0_lS6_lS5_l.num_agpr, 0
	.set _ZN9rocsolver6v33100L22larf_left_kernel_smallILi256EdiPKPdEEvT1_S5_T2_lS5_lPKT0_lS6_lS5_l.numbered_sgpr, 28
	.set _ZN9rocsolver6v33100L22larf_left_kernel_smallILi256EdiPKPdEEvT1_S5_T2_lS5_lPKT0_lS6_lS5_l.num_named_barrier, 0
	.set _ZN9rocsolver6v33100L22larf_left_kernel_smallILi256EdiPKPdEEvT1_S5_T2_lS5_lPKT0_lS6_lS5_l.private_seg_size, 0
	.set _ZN9rocsolver6v33100L22larf_left_kernel_smallILi256EdiPKPdEEvT1_S5_T2_lS5_lPKT0_lS6_lS5_l.uses_vcc, 1
	.set _ZN9rocsolver6v33100L22larf_left_kernel_smallILi256EdiPKPdEEvT1_S5_T2_lS5_lPKT0_lS6_lS5_l.uses_flat_scratch, 0
	.set _ZN9rocsolver6v33100L22larf_left_kernel_smallILi256EdiPKPdEEvT1_S5_T2_lS5_lPKT0_lS6_lS5_l.has_dyn_sized_stack, 0
	.set _ZN9rocsolver6v33100L22larf_left_kernel_smallILi256EdiPKPdEEvT1_S5_T2_lS5_lPKT0_lS6_lS5_l.has_recursion, 0
	.set _ZN9rocsolver6v33100L22larf_left_kernel_smallILi256EdiPKPdEEvT1_S5_T2_lS5_lPKT0_lS6_lS5_l.has_indirect_call, 0
	.section	.AMDGPU.csdata,"",@progbits
; Kernel info:
; codeLenInByte = 1124
; TotalNumSgprs: 34
; NumVgprs: 22
; NumAgprs: 0
; TotalNumVgprs: 22
; ScratchSize: 0
; MemoryBound: 0
; FloatMode: 240
; IeeeMode: 1
; LDSByteSize: 18432 bytes/workgroup (compile time only)
; SGPRBlocks: 4
; VGPRBlocks: 2
; NumSGPRsForWavesPerEU: 34
; NumVGPRsForWavesPerEU: 22
; AccumOffset: 24
; Occupancy: 8
; WaveLimiterHint : 1
; COMPUTE_PGM_RSRC2:SCRATCH_EN: 0
; COMPUTE_PGM_RSRC2:USER_SGPR: 2
; COMPUTE_PGM_RSRC2:TRAP_HANDLER: 0
; COMPUTE_PGM_RSRC2:TGID_X_EN: 1
; COMPUTE_PGM_RSRC2:TGID_Y_EN: 1
; COMPUTE_PGM_RSRC2:TGID_Z_EN: 0
; COMPUTE_PGM_RSRC2:TIDIG_COMP_CNT: 0
; COMPUTE_PGM_RSRC3_GFX90A:ACCUM_OFFSET: 5
; COMPUTE_PGM_RSRC3_GFX90A:TG_SPLIT: 0
	.section	.text._ZN9rocsolver6v33100L22larf_left_kernel_smallILi512EdiPKPdEEvT1_S5_T2_lS5_lPKT0_lS6_lS5_l,"axG",@progbits,_ZN9rocsolver6v33100L22larf_left_kernel_smallILi512EdiPKPdEEvT1_S5_T2_lS5_lPKT0_lS6_lS5_l,comdat
	.globl	_ZN9rocsolver6v33100L22larf_left_kernel_smallILi512EdiPKPdEEvT1_S5_T2_lS5_lPKT0_lS6_lS5_l ; -- Begin function _ZN9rocsolver6v33100L22larf_left_kernel_smallILi512EdiPKPdEEvT1_S5_T2_lS5_lPKT0_lS6_lS5_l
	.p2align	8
	.type	_ZN9rocsolver6v33100L22larf_left_kernel_smallILi512EdiPKPdEEvT1_S5_T2_lS5_lPKT0_lS6_lS5_l,@function
_ZN9rocsolver6v33100L22larf_left_kernel_smallILi512EdiPKPdEEvT1_S5_T2_lS5_lPKT0_lS6_lS5_l: ; @_ZN9rocsolver6v33100L22larf_left_kernel_smallILi512EdiPKPdEEvT1_S5_T2_lS5_lPKT0_lS6_lS5_l
; %bb.0:
	s_load_dwordx8 s[12:19], s[0:1], 0x28
	s_load_dwordx2 s[10:11], s[0:1], 0x0
	s_mov_b32 s8, s3
	s_ashr_i32 s3, s2, 31
	s_lshl_b64 s[20:21], s[2:3], 3
	s_waitcnt lgkmcnt(0)
	s_add_u32 s4, s16, s20
	s_addc_u32 s5, s17, s21
	s_load_dwordx2 s[16:17], s[4:5], 0x0
	v_cmp_gt_i32_e64 s[6:7], s10, v0
	v_lshlrev_b32_e32 v2, 3, v0
	s_and_saveexec_b64 s[4:5], s[6:7]
	s_cbranch_execz .LBB13_3
; %bb.1:
	s_load_dwordx4 s[24:27], s[0:1], 0x8
	s_load_dword s9, s[0:1], 0x18
	v_lshlrev_b32_e32 v1, 3, v0
	s_waitcnt lgkmcnt(0)
	s_add_u32 s20, s24, s20
	s_addc_u32 s21, s25, s21
	s_load_dwordx2 s[22:23], s[20:21], 0x0
	s_lshl_b64 s[24:25], s[26:27], 3
	v_mul_lo_u32 v3, v0, s9
	s_mov_b64 s[20:21], 0
	s_waitcnt lgkmcnt(0)
	s_add_u32 s22, s22, s24
	s_addc_u32 s23, s23, s25
	s_sub_i32 s24, 1, s10
	s_mul_i32 s24, s9, s24
	s_cmp_lt_i32 s9, 1
	s_cselect_b32 s24, s24, 0
	s_lshl_b32 s9, s9, 9
	v_add_u32_e32 v4, s24, v3
	v_mov_b32_e32 v3, v0
.LBB13_2:                               ; =>This Inner Loop Header: Depth=1
	v_ashrrev_i32_e32 v5, 31, v4
	v_lshl_add_u64 v[6:7], v[4:5], 3, s[22:23]
	flat_load_dwordx2 v[6:7], v[6:7]
	v_add_u32_e32 v3, 0x200, v3
	v_cmp_le_i32_e32 vcc, s10, v3
	v_add_u32_e32 v4, s9, v4
	s_or_b64 s[20:21], vcc, s[20:21]
	s_waitcnt vmcnt(0) lgkmcnt(0)
	ds_write_b64 v1, v[6:7]
	v_add_u32_e32 v1, 0x1000, v1
	s_andn2_b64 exec, exec, s[20:21]
	s_cbranch_execnz .LBB13_2
.LBB13_3:
	s_or_b64 exec, exec, s[4:5]
	s_cmp_ge_i32 s8, s11
	s_waitcnt lgkmcnt(0)
	s_barrier
	s_cbranch_scc1 .LBB13_23
; %bb.4:
	s_load_dword s9, s[0:1], 0x48
	s_mul_i32 s0, s14, s3
	s_mul_hi_u32 s1, s14, s2
	s_add_i32 s0, s1, s0
	s_mul_i32 s1, s15, s2
	s_add_i32 s1, s0, s1
	s_mul_i32 s0, s14, s2
	s_lshl_b64 s[0:1], s[0:1], 3
	s_add_u32 s0, s12, s0
	s_addc_u32 s1, s13, s1
	s_cmp_gt_i32 s10, 1
	s_cselect_b64 s[12:13], -1, 0
	s_lshl_b64 s[14:15], s[18:19], 3
	s_add_u32 s14, s16, s14
	v_mbcnt_lo_u32_b32 v6, -1, 0
	v_and_b32_e32 v1, 63, v0
	v_mov_b32_e32 v3, 0
	s_addc_u32 s15, s17, s15
	v_mbcnt_hi_u32_b32 v17, -1, v6
	v_mov_b32_e32 v6, 0x80
	v_cmp_eq_u32_e64 s[2:3], 0, v1
	v_lshrrev_b32_e32 v1, 3, v0
	v_cmp_eq_u32_e64 s[4:5], 0, v0
	v_lshl_add_u64 v[4:5], s[14:15], 0, v[2:3]
	s_waitcnt lgkmcnt(0)
	s_mul_i32 s14, s8, s9
	s_lshl_b32 s9, s9, 6
	s_mov_b64 s[16:17], 0x1000
	v_mov_b32_e32 v14, 0x4008
	v_mov_b32_e32 v15, 0x4018
	;; [unrolled: 1-line block ×3, first 2 shown]
	v_and_b32_e32 v18, 63, v17
	v_lshl_or_b32 v19, v17, 2, v6
	s_branch .LBB13_6
.LBB13_5:                               ;   in Loop: Header=BB13_6 Depth=1
	s_or_b64 exec, exec, s[18:19]
	s_add_i32 s8, s8, 64
	s_add_i32 s14, s14, s9
	s_cmp_ge_i32 s8, s11
	s_cbranch_scc1 .LBB13_23
.LBB13_6:                               ; =>This Loop Header: Depth=1
                                        ;     Child Loop BB13_8 Depth 2
                                        ;     Child Loop BB13_22 Depth 2
	s_ashr_i32 s15, s14, 31
	v_lshl_add_u64 v[6:7], s[14:15], 3, v[4:5]
	v_mov_b64_e32 v[8:9], 0
	s_and_saveexec_b64 s[18:19], s[6:7]
	s_cbranch_execz .LBB13_10
; %bb.7:                                ;   in Loop: Header=BB13_6 Depth=1
	v_mov_b64_e32 v[8:9], 0
	s_mov_b64 s[20:21], 0
	v_mov_b64_e32 v[10:11], v[6:7]
	v_mov_b32_e32 v12, v2
	v_mov_b32_e32 v13, v0
.LBB13_8:                               ;   Parent Loop BB13_6 Depth=1
                                        ; =>  This Inner Loop Header: Depth=2
	flat_load_dwordx2 v[20:21], v[10:11]
	ds_read_b64 v[22:23], v12
	v_add_u32_e32 v13, 0x200, v13
	v_cmp_le_i32_e32 vcc, s10, v13
	v_add_u32_e32 v12, 0x1000, v12
	v_lshl_add_u64 v[10:11], v[10:11], 0, s[16:17]
	s_or_b64 s[20:21], vcc, s[20:21]
	s_waitcnt vmcnt(0) lgkmcnt(0)
	v_fmac_f64_e32 v[8:9], v[22:23], v[20:21]
	s_andn2_b64 exec, exec, s[20:21]
	s_cbranch_execnz .LBB13_8
; %bb.9:                                ;   in Loop: Header=BB13_6 Depth=1
	s_or_b64 exec, exec, s[20:21]
.LBB13_10:                              ;   in Loop: Header=BB13_6 Depth=1
	s_or_b64 exec, exec, s[18:19]
	s_and_b64 vcc, exec, s[12:13]
	s_cbranch_vccz .LBB13_17
; %bb.11:                               ;   in Loop: Header=BB13_6 Depth=1
	v_cmp_ne_u32_e32 vcc, 63, v18
	s_nop 1
	v_addc_co_u32_e32 v10, vcc, 0, v17, vcc
	v_lshlrev_b32_e32 v11, 2, v10
	ds_bpermute_b32 v10, v11, v8
	ds_bpermute_b32 v11, v11, v9
	v_cmp_gt_u32_e32 vcc, 62, v18
	s_waitcnt lgkmcnt(0)
	v_add_f64 v[10:11], v[8:9], v[10:11]
	v_cndmask_b32_e64 v12, 0, 2, vcc
	v_add_lshl_u32 v13, v12, v17, 2
	ds_bpermute_b32 v12, v13, v10
	ds_bpermute_b32 v13, v13, v11
	v_cmp_gt_u32_e32 vcc, 60, v18
	s_waitcnt lgkmcnt(0)
	v_add_f64 v[10:11], v[10:11], v[12:13]
	v_cndmask_b32_e64 v12, 0, 4, vcc
	v_add_lshl_u32 v13, v12, v17, 2
	;; [unrolled: 7-line block ×4, first 2 shown]
	ds_bpermute_b32 v12, v13, v10
	ds_bpermute_b32 v13, v13, v11
	s_waitcnt lgkmcnt(0)
	v_add_f64 v[10:11], v[10:11], v[12:13]
	ds_bpermute_b32 v12, v19, v10
	ds_bpermute_b32 v13, v19, v11
	s_waitcnt lgkmcnt(0)
	v_add_f64 v[10:11], v[10:11], v[12:13]
	s_and_saveexec_b64 s[18:19], s[2:3]
; %bb.12:                               ;   in Loop: Header=BB13_6 Depth=1
	ds_write_b64 v1, v[10:11] offset:16384
; %bb.13:                               ;   in Loop: Header=BB13_6 Depth=1
	s_or_b64 exec, exec, s[18:19]
	s_mov_b64 s[20:21], 0
	s_mov_b64 s[18:19], 0
	s_waitcnt lgkmcnt(0)
	s_barrier
                                        ; implicit-def: $vgpr12_vgpr13
	s_and_saveexec_b64 s[22:23], s[4:5]
	s_xor_b64 s[22:23], exec, s[22:23]
	s_cbranch_execz .LBB13_15
; %bb.14:                               ;   in Loop: Header=BB13_6 Depth=1
	ds_read2_b64 v[20:23], v14 offset1:1
	ds_read2_b64 v[24:27], v15 offset1:1
	;; [unrolled: 1-line block ×3, first 2 shown]
	ds_read_b64 v[12:13], v3 offset:16440
	s_mov_b64 s[18:19], exec
	s_waitcnt lgkmcnt(0)
	v_add_f64 v[10:11], v[10:11], v[20:21]
	v_add_f64 v[10:11], v[10:11], v[22:23]
	s_waitcnt lgkmcnt(2)
	v_add_f64 v[10:11], v[10:11], v[24:25]
	v_add_f64 v[10:11], v[10:11], v[26:27]
	;; [unrolled: 3-line block ×3, first 2 shown]
	s_waitcnt lgkmcnt(0)
	v_add_f64 v[12:13], v[10:11], v[12:13]
.LBB13_15:                              ;   in Loop: Header=BB13_6 Depth=1
	s_or_b64 exec, exec, s[22:23]
	s_and_b64 vcc, exec, s[20:21]
	s_cbranch_vccnz .LBB13_18
.LBB13_16:                              ;   in Loop: Header=BB13_6 Depth=1
	v_mov_b64_e32 v[8:9], v[12:13]
	s_and_saveexec_b64 s[20:21], s[18:19]
	s_cbranch_execnz .LBB13_19
	s_branch .LBB13_20
.LBB13_17:                              ;   in Loop: Header=BB13_6 Depth=1
	s_mov_b64 s[18:19], 0
                                        ; implicit-def: $vgpr12_vgpr13
	s_cbranch_execz .LBB13_16
.LBB13_18:                              ;   in Loop: Header=BB13_6 Depth=1
	s_andn2_b64 s[18:19], s[18:19], exec
	s_and_b64 s[20:21], s[4:5], exec
	s_or_b64 s[18:19], s[18:19], s[20:21]
	s_and_saveexec_b64 s[20:21], s[18:19]
.LBB13_19:                              ;   in Loop: Header=BB13_6 Depth=1
	ds_write_b64 v3, v[8:9] offset:16384
.LBB13_20:                              ;   in Loop: Header=BB13_6 Depth=1
	s_or_b64 exec, exec, s[20:21]
	s_waitcnt lgkmcnt(0)
	s_barrier
	s_and_saveexec_b64 s[18:19], s[6:7]
	s_cbranch_execz .LBB13_5
; %bb.21:                               ;   in Loop: Header=BB13_6 Depth=1
	global_load_dwordx2 v[8:9], v3, s[0:1]
	ds_read_b64 v[12:13], v3 offset:16384
	s_mov_b64 s[20:21], 0
	v_mov_b32_e32 v10, v2
	v_mov_b32_e32 v11, v0
	s_waitcnt vmcnt(0) lgkmcnt(0)
	v_mul_f64 v[8:9], v[12:13], -v[8:9]
.LBB13_22:                              ;   Parent Loop BB13_6 Depth=1
                                        ; =>  This Inner Loop Header: Depth=2
	flat_load_dwordx2 v[12:13], v[6:7]
	ds_read_b64 v[20:21], v10
	v_add_u32_e32 v11, 0x200, v11
	v_cmp_le_i32_e32 vcc, s10, v11
	s_or_b64 s[20:21], vcc, s[20:21]
	v_add_u32_e32 v10, 0x1000, v10
	s_waitcnt vmcnt(0) lgkmcnt(0)
	v_fmac_f64_e32 v[12:13], v[8:9], v[20:21]
	flat_store_dwordx2 v[6:7], v[12:13]
	v_lshl_add_u64 v[6:7], v[6:7], 0, s[16:17]
	s_andn2_b64 exec, exec, s[20:21]
	s_cbranch_execnz .LBB13_22
	s_branch .LBB13_5
.LBB13_23:
	s_endpgm
	.section	.rodata,"a",@progbits
	.p2align	6, 0x0
	.amdhsa_kernel _ZN9rocsolver6v33100L22larf_left_kernel_smallILi512EdiPKPdEEvT1_S5_T2_lS5_lPKT0_lS6_lS5_l
		.amdhsa_group_segment_fixed_size 20480
		.amdhsa_private_segment_fixed_size 0
		.amdhsa_kernarg_size 88
		.amdhsa_user_sgpr_count 2
		.amdhsa_user_sgpr_dispatch_ptr 0
		.amdhsa_user_sgpr_queue_ptr 0
		.amdhsa_user_sgpr_kernarg_segment_ptr 1
		.amdhsa_user_sgpr_dispatch_id 0
		.amdhsa_user_sgpr_kernarg_preload_length 0
		.amdhsa_user_sgpr_kernarg_preload_offset 0
		.amdhsa_user_sgpr_private_segment_size 0
		.amdhsa_uses_dynamic_stack 0
		.amdhsa_enable_private_segment 0
		.amdhsa_system_sgpr_workgroup_id_x 1
		.amdhsa_system_sgpr_workgroup_id_y 1
		.amdhsa_system_sgpr_workgroup_id_z 0
		.amdhsa_system_sgpr_workgroup_info 0
		.amdhsa_system_vgpr_workitem_id 0
		.amdhsa_next_free_vgpr 32
		.amdhsa_next_free_sgpr 28
		.amdhsa_accum_offset 32
		.amdhsa_reserve_vcc 1
		.amdhsa_float_round_mode_32 0
		.amdhsa_float_round_mode_16_64 0
		.amdhsa_float_denorm_mode_32 3
		.amdhsa_float_denorm_mode_16_64 3
		.amdhsa_dx10_clamp 1
		.amdhsa_ieee_mode 1
		.amdhsa_fp16_overflow 0
		.amdhsa_tg_split 0
		.amdhsa_exception_fp_ieee_invalid_op 0
		.amdhsa_exception_fp_denorm_src 0
		.amdhsa_exception_fp_ieee_div_zero 0
		.amdhsa_exception_fp_ieee_overflow 0
		.amdhsa_exception_fp_ieee_underflow 0
		.amdhsa_exception_fp_ieee_inexact 0
		.amdhsa_exception_int_div_zero 0
	.end_amdhsa_kernel
	.section	.text._ZN9rocsolver6v33100L22larf_left_kernel_smallILi512EdiPKPdEEvT1_S5_T2_lS5_lPKT0_lS6_lS5_l,"axG",@progbits,_ZN9rocsolver6v33100L22larf_left_kernel_smallILi512EdiPKPdEEvT1_S5_T2_lS5_lPKT0_lS6_lS5_l,comdat
.Lfunc_end13:
	.size	_ZN9rocsolver6v33100L22larf_left_kernel_smallILi512EdiPKPdEEvT1_S5_T2_lS5_lPKT0_lS6_lS5_l, .Lfunc_end13-_ZN9rocsolver6v33100L22larf_left_kernel_smallILi512EdiPKPdEEvT1_S5_T2_lS5_lPKT0_lS6_lS5_l
                                        ; -- End function
	.set _ZN9rocsolver6v33100L22larf_left_kernel_smallILi512EdiPKPdEEvT1_S5_T2_lS5_lPKT0_lS6_lS5_l.num_vgpr, 32
	.set _ZN9rocsolver6v33100L22larf_left_kernel_smallILi512EdiPKPdEEvT1_S5_T2_lS5_lPKT0_lS6_lS5_l.num_agpr, 0
	.set _ZN9rocsolver6v33100L22larf_left_kernel_smallILi512EdiPKPdEEvT1_S5_T2_lS5_lPKT0_lS6_lS5_l.numbered_sgpr, 28
	.set _ZN9rocsolver6v33100L22larf_left_kernel_smallILi512EdiPKPdEEvT1_S5_T2_lS5_lPKT0_lS6_lS5_l.num_named_barrier, 0
	.set _ZN9rocsolver6v33100L22larf_left_kernel_smallILi512EdiPKPdEEvT1_S5_T2_lS5_lPKT0_lS6_lS5_l.private_seg_size, 0
	.set _ZN9rocsolver6v33100L22larf_left_kernel_smallILi512EdiPKPdEEvT1_S5_T2_lS5_lPKT0_lS6_lS5_l.uses_vcc, 1
	.set _ZN9rocsolver6v33100L22larf_left_kernel_smallILi512EdiPKPdEEvT1_S5_T2_lS5_lPKT0_lS6_lS5_l.uses_flat_scratch, 0
	.set _ZN9rocsolver6v33100L22larf_left_kernel_smallILi512EdiPKPdEEvT1_S5_T2_lS5_lPKT0_lS6_lS5_l.has_dyn_sized_stack, 0
	.set _ZN9rocsolver6v33100L22larf_left_kernel_smallILi512EdiPKPdEEvT1_S5_T2_lS5_lPKT0_lS6_lS5_l.has_recursion, 0
	.set _ZN9rocsolver6v33100L22larf_left_kernel_smallILi512EdiPKPdEEvT1_S5_T2_lS5_lPKT0_lS6_lS5_l.has_indirect_call, 0
	.section	.AMDGPU.csdata,"",@progbits
; Kernel info:
; codeLenInByte = 1196
; TotalNumSgprs: 34
; NumVgprs: 32
; NumAgprs: 0
; TotalNumVgprs: 32
; ScratchSize: 0
; MemoryBound: 0
; FloatMode: 240
; IeeeMode: 1
; LDSByteSize: 20480 bytes/workgroup (compile time only)
; SGPRBlocks: 4
; VGPRBlocks: 3
; NumSGPRsForWavesPerEU: 34
; NumVGPRsForWavesPerEU: 32
; AccumOffset: 32
; Occupancy: 8
; WaveLimiterHint : 1
; COMPUTE_PGM_RSRC2:SCRATCH_EN: 0
; COMPUTE_PGM_RSRC2:USER_SGPR: 2
; COMPUTE_PGM_RSRC2:TRAP_HANDLER: 0
; COMPUTE_PGM_RSRC2:TGID_X_EN: 1
; COMPUTE_PGM_RSRC2:TGID_Y_EN: 1
; COMPUTE_PGM_RSRC2:TGID_Z_EN: 0
; COMPUTE_PGM_RSRC2:TIDIG_COMP_CNT: 0
; COMPUTE_PGM_RSRC3_GFX90A:ACCUM_OFFSET: 7
; COMPUTE_PGM_RSRC3_GFX90A:TG_SPLIT: 0
	.section	.text._ZN9rocsolver6v33100L22larf_left_kernel_smallILi1024EdiPKPdEEvT1_S5_T2_lS5_lPKT0_lS6_lS5_l,"axG",@progbits,_ZN9rocsolver6v33100L22larf_left_kernel_smallILi1024EdiPKPdEEvT1_S5_T2_lS5_lPKT0_lS6_lS5_l,comdat
	.globl	_ZN9rocsolver6v33100L22larf_left_kernel_smallILi1024EdiPKPdEEvT1_S5_T2_lS5_lPKT0_lS6_lS5_l ; -- Begin function _ZN9rocsolver6v33100L22larf_left_kernel_smallILi1024EdiPKPdEEvT1_S5_T2_lS5_lPKT0_lS6_lS5_l
	.p2align	8
	.type	_ZN9rocsolver6v33100L22larf_left_kernel_smallILi1024EdiPKPdEEvT1_S5_T2_lS5_lPKT0_lS6_lS5_l,@function
_ZN9rocsolver6v33100L22larf_left_kernel_smallILi1024EdiPKPdEEvT1_S5_T2_lS5_lPKT0_lS6_lS5_l: ; @_ZN9rocsolver6v33100L22larf_left_kernel_smallILi1024EdiPKPdEEvT1_S5_T2_lS5_lPKT0_lS6_lS5_l
; %bb.0:
	s_load_dwordx8 s[12:19], s[0:1], 0x28
	s_load_dwordx2 s[10:11], s[0:1], 0x0
	s_mov_b32 s8, s3
	s_ashr_i32 s3, s2, 31
	s_lshl_b64 s[20:21], s[2:3], 3
	s_waitcnt lgkmcnt(0)
	s_add_u32 s4, s16, s20
	s_addc_u32 s5, s17, s21
	s_load_dwordx2 s[16:17], s[4:5], 0x0
	v_cmp_gt_i32_e64 s[6:7], s10, v0
	v_lshlrev_b32_e32 v2, 3, v0
	s_and_saveexec_b64 s[4:5], s[6:7]
	s_cbranch_execz .LBB14_3
; %bb.1:
	s_load_dwordx4 s[24:27], s[0:1], 0x8
	s_load_dword s9, s[0:1], 0x18
	v_lshlrev_b32_e32 v1, 3, v0
	s_waitcnt lgkmcnt(0)
	s_add_u32 s20, s24, s20
	s_addc_u32 s21, s25, s21
	s_load_dwordx2 s[22:23], s[20:21], 0x0
	s_lshl_b64 s[24:25], s[26:27], 3
	v_mul_lo_u32 v3, v0, s9
	s_mov_b64 s[20:21], 0
	s_waitcnt lgkmcnt(0)
	s_add_u32 s22, s22, s24
	s_addc_u32 s23, s23, s25
	s_sub_i32 s24, 1, s10
	s_mul_i32 s24, s9, s24
	s_cmp_lt_i32 s9, 1
	s_cselect_b32 s24, s24, 0
	s_lshl_b32 s9, s9, 10
	v_add_u32_e32 v4, s24, v3
	v_mov_b32_e32 v3, v0
.LBB14_2:                               ; =>This Inner Loop Header: Depth=1
	v_ashrrev_i32_e32 v5, 31, v4
	v_lshl_add_u64 v[6:7], v[4:5], 3, s[22:23]
	flat_load_dwordx2 v[6:7], v[6:7]
	v_add_u32_e32 v3, 0x400, v3
	v_cmp_le_i32_e32 vcc, s10, v3
	v_add_u32_e32 v4, s9, v4
	s_or_b64 s[20:21], vcc, s[20:21]
	s_waitcnt vmcnt(0) lgkmcnt(0)
	ds_write_b64 v1, v[6:7]
	v_add_u32_e32 v1, 0x2000, v1
	s_andn2_b64 exec, exec, s[20:21]
	s_cbranch_execnz .LBB14_2
.LBB14_3:
	s_or_b64 exec, exec, s[4:5]
	s_cmp_ge_i32 s8, s11
	s_waitcnt lgkmcnt(0)
	s_barrier
	s_cbranch_scc1 .LBB14_23
; %bb.4:
	s_load_dword s9, s[0:1], 0x48
	s_mul_i32 s0, s14, s3
	s_mul_hi_u32 s1, s14, s2
	s_add_i32 s0, s1, s0
	s_mul_i32 s1, s15, s2
	s_add_i32 s1, s0, s1
	s_mul_i32 s0, s14, s2
	s_lshl_b64 s[0:1], s[0:1], 3
	s_add_u32 s0, s12, s0
	s_addc_u32 s1, s13, s1
	s_cmp_gt_i32 s10, 1
	s_cselect_b64 s[12:13], -1, 0
	s_lshl_b64 s[14:15], s[18:19], 3
	s_add_u32 s14, s16, s14
	v_mbcnt_lo_u32_b32 v6, -1, 0
	v_and_b32_e32 v1, 63, v0
	v_mov_b32_e32 v3, 0
	s_addc_u32 s15, s17, s15
	v_mbcnt_hi_u32_b32 v21, -1, v6
	v_mov_b32_e32 v6, 0x80
	v_cmp_eq_u32_e64 s[2:3], 0, v1
	v_lshrrev_b32_e32 v1, 3, v0
	v_cmp_eq_u32_e64 s[4:5], 0, v0
	v_lshl_add_u64 v[4:5], s[14:15], 0, v[2:3]
	s_waitcnt lgkmcnt(0)
	s_mul_i32 s14, s8, s9
	s_lshl_b32 s9, s9, 6
	s_mov_b64 s[16:17], 0x2000
	v_mov_b32_e32 v14, 0x4008
	v_mov_b32_e32 v15, 0x4018
	;; [unrolled: 1-line block ×7, first 2 shown]
	v_and_b32_e32 v22, 63, v21
	v_lshl_or_b32 v23, v21, 2, v6
	s_branch .LBB14_6
.LBB14_5:                               ;   in Loop: Header=BB14_6 Depth=1
	s_or_b64 exec, exec, s[18:19]
	s_add_i32 s8, s8, 64
	s_add_i32 s14, s14, s9
	s_cmp_ge_i32 s8, s11
	s_cbranch_scc1 .LBB14_23
.LBB14_6:                               ; =>This Loop Header: Depth=1
                                        ;     Child Loop BB14_8 Depth 2
                                        ;     Child Loop BB14_22 Depth 2
	s_ashr_i32 s15, s14, 31
	v_lshl_add_u64 v[6:7], s[14:15], 3, v[4:5]
	v_mov_b64_e32 v[8:9], 0
	s_and_saveexec_b64 s[18:19], s[6:7]
	s_cbranch_execz .LBB14_10
; %bb.7:                                ;   in Loop: Header=BB14_6 Depth=1
	v_mov_b64_e32 v[8:9], 0
	s_mov_b64 s[20:21], 0
	v_mov_b64_e32 v[10:11], v[6:7]
	v_mov_b32_e32 v12, v2
	v_mov_b32_e32 v13, v0
.LBB14_8:                               ;   Parent Loop BB14_6 Depth=1
                                        ; =>  This Inner Loop Header: Depth=2
	flat_load_dwordx2 v[24:25], v[10:11]
	ds_read_b64 v[26:27], v12
	v_add_u32_e32 v13, 0x400, v13
	v_cmp_le_i32_e32 vcc, s10, v13
	v_add_u32_e32 v12, 0x2000, v12
	v_lshl_add_u64 v[10:11], v[10:11], 0, s[16:17]
	s_or_b64 s[20:21], vcc, s[20:21]
	s_waitcnt vmcnt(0) lgkmcnt(0)
	v_fmac_f64_e32 v[8:9], v[26:27], v[24:25]
	s_andn2_b64 exec, exec, s[20:21]
	s_cbranch_execnz .LBB14_8
; %bb.9:                                ;   in Loop: Header=BB14_6 Depth=1
	s_or_b64 exec, exec, s[20:21]
.LBB14_10:                              ;   in Loop: Header=BB14_6 Depth=1
	s_or_b64 exec, exec, s[18:19]
	s_and_b64 vcc, exec, s[12:13]
	s_cbranch_vccz .LBB14_17
; %bb.11:                               ;   in Loop: Header=BB14_6 Depth=1
	v_cmp_ne_u32_e32 vcc, 63, v22
	s_nop 1
	v_addc_co_u32_e32 v10, vcc, 0, v21, vcc
	v_lshlrev_b32_e32 v11, 2, v10
	ds_bpermute_b32 v10, v11, v8
	ds_bpermute_b32 v11, v11, v9
	v_cmp_gt_u32_e32 vcc, 62, v22
	s_waitcnt lgkmcnt(0)
	v_add_f64 v[10:11], v[8:9], v[10:11]
	v_cndmask_b32_e64 v12, 0, 2, vcc
	v_add_lshl_u32 v13, v12, v21, 2
	ds_bpermute_b32 v12, v13, v10
	ds_bpermute_b32 v13, v13, v11
	v_cmp_gt_u32_e32 vcc, 60, v22
	s_waitcnt lgkmcnt(0)
	v_add_f64 v[10:11], v[10:11], v[12:13]
	v_cndmask_b32_e64 v12, 0, 4, vcc
	v_add_lshl_u32 v13, v12, v21, 2
	;; [unrolled: 7-line block ×4, first 2 shown]
	ds_bpermute_b32 v12, v13, v10
	ds_bpermute_b32 v13, v13, v11
	s_waitcnt lgkmcnt(0)
	v_add_f64 v[10:11], v[10:11], v[12:13]
	ds_bpermute_b32 v12, v23, v10
	ds_bpermute_b32 v13, v23, v11
	s_waitcnt lgkmcnt(0)
	v_add_f64 v[10:11], v[10:11], v[12:13]
	s_and_saveexec_b64 s[18:19], s[2:3]
; %bb.12:                               ;   in Loop: Header=BB14_6 Depth=1
	ds_write_b64 v1, v[10:11] offset:16384
; %bb.13:                               ;   in Loop: Header=BB14_6 Depth=1
	s_or_b64 exec, exec, s[18:19]
	s_mov_b64 s[20:21], 0
	s_mov_b64 s[18:19], 0
	s_waitcnt lgkmcnt(0)
	s_barrier
                                        ; implicit-def: $vgpr12_vgpr13
	s_and_saveexec_b64 s[22:23], s[4:5]
	s_xor_b64 s[22:23], exec, s[22:23]
	s_cbranch_execz .LBB14_15
; %bb.14:                               ;   in Loop: Header=BB14_6 Depth=1
	ds_read2_b64 v[24:27], v14 offset1:1
	ds_read2_b64 v[28:31], v15 offset1:1
	ds_read2_b64 v[32:35], v16 offset1:1
	ds_read2_b64 v[36:39], v17 offset1:1
	s_mov_b64 s[18:19], exec
	s_waitcnt lgkmcnt(0)
	v_add_f64 v[10:11], v[10:11], v[24:25]
	v_add_f64 v[10:11], v[10:11], v[26:27]
	s_waitcnt lgkmcnt(2)
	v_add_f64 v[10:11], v[10:11], v[28:29]
	v_add_f64 v[10:11], v[10:11], v[30:31]
	s_waitcnt lgkmcnt(1)
	v_add_f64 v[24:25], v[10:11], v[32:33]
	ds_read2_b64 v[10:13], v18 offset1:1
	v_add_f64 v[24:25], v[24:25], v[34:35]
	s_waitcnt lgkmcnt(1)
	v_add_f64 v[24:25], v[24:25], v[36:37]
	v_add_f64 v[28:29], v[24:25], v[38:39]
	ds_read2_b64 v[24:27], v19 offset1:1
	s_waitcnt lgkmcnt(0)
	v_add_f64 v[10:11], v[28:29], v[10:11]
	ds_read2_b64 v[28:31], v20 offset1:1
	v_add_f64 v[10:11], v[10:11], v[12:13]
	ds_read_b64 v[12:13], v3 offset:16504
	s_waitcnt lgkmcnt(2)
	v_add_f64 v[10:11], v[10:11], v[24:25]
	v_add_f64 v[10:11], v[10:11], v[26:27]
	s_waitcnt lgkmcnt(0)
	v_add_f64 v[10:11], v[10:11], v[28:29]
	v_add_f64 v[10:11], v[10:11], v[30:31]
	s_waitcnt lgkmcnt(0)
	v_add_f64 v[12:13], v[10:11], v[12:13]
.LBB14_15:                              ;   in Loop: Header=BB14_6 Depth=1
	s_or_b64 exec, exec, s[22:23]
	s_and_b64 vcc, exec, s[20:21]
	s_cbranch_vccnz .LBB14_18
.LBB14_16:                              ;   in Loop: Header=BB14_6 Depth=1
	v_mov_b64_e32 v[8:9], v[12:13]
	s_and_saveexec_b64 s[20:21], s[18:19]
	s_cbranch_execnz .LBB14_19
	s_branch .LBB14_20
.LBB14_17:                              ;   in Loop: Header=BB14_6 Depth=1
	s_mov_b64 s[18:19], 0
                                        ; implicit-def: $vgpr12_vgpr13
	s_cbranch_execz .LBB14_16
.LBB14_18:                              ;   in Loop: Header=BB14_6 Depth=1
	s_andn2_b64 s[18:19], s[18:19], exec
	s_and_b64 s[20:21], s[4:5], exec
	s_or_b64 s[18:19], s[18:19], s[20:21]
	s_and_saveexec_b64 s[20:21], s[18:19]
.LBB14_19:                              ;   in Loop: Header=BB14_6 Depth=1
	ds_write_b64 v3, v[8:9] offset:16384
.LBB14_20:                              ;   in Loop: Header=BB14_6 Depth=1
	s_or_b64 exec, exec, s[20:21]
	s_waitcnt lgkmcnt(0)
	s_barrier
	s_and_saveexec_b64 s[18:19], s[6:7]
	s_cbranch_execz .LBB14_5
; %bb.21:                               ;   in Loop: Header=BB14_6 Depth=1
	global_load_dwordx2 v[8:9], v3, s[0:1]
	ds_read_b64 v[12:13], v3 offset:16384
	s_mov_b64 s[20:21], 0
	v_mov_b32_e32 v10, v2
	v_mov_b32_e32 v11, v0
	s_waitcnt vmcnt(0) lgkmcnt(0)
	v_mul_f64 v[8:9], v[12:13], -v[8:9]
.LBB14_22:                              ;   Parent Loop BB14_6 Depth=1
                                        ; =>  This Inner Loop Header: Depth=2
	flat_load_dwordx2 v[12:13], v[6:7]
	ds_read_b64 v[24:25], v10
	v_add_u32_e32 v11, 0x400, v11
	v_cmp_le_i32_e32 vcc, s10, v11
	s_or_b64 s[20:21], vcc, s[20:21]
	v_add_u32_e32 v10, 0x2000, v10
	s_waitcnt vmcnt(0) lgkmcnt(0)
	v_fmac_f64_e32 v[12:13], v[8:9], v[24:25]
	flat_store_dwordx2 v[6:7], v[12:13]
	v_lshl_add_u64 v[6:7], v[6:7], 0, s[16:17]
	s_andn2_b64 exec, exec, s[20:21]
	s_cbranch_execnz .LBB14_22
	s_branch .LBB14_5
.LBB14_23:
	s_endpgm
	.section	.rodata,"a",@progbits
	.p2align	6, 0x0
	.amdhsa_kernel _ZN9rocsolver6v33100L22larf_left_kernel_smallILi1024EdiPKPdEEvT1_S5_T2_lS5_lPKT0_lS6_lS5_l
		.amdhsa_group_segment_fixed_size 24576
		.amdhsa_private_segment_fixed_size 0
		.amdhsa_kernarg_size 88
		.amdhsa_user_sgpr_count 2
		.amdhsa_user_sgpr_dispatch_ptr 0
		.amdhsa_user_sgpr_queue_ptr 0
		.amdhsa_user_sgpr_kernarg_segment_ptr 1
		.amdhsa_user_sgpr_dispatch_id 0
		.amdhsa_user_sgpr_kernarg_preload_length 0
		.amdhsa_user_sgpr_kernarg_preload_offset 0
		.amdhsa_user_sgpr_private_segment_size 0
		.amdhsa_uses_dynamic_stack 0
		.amdhsa_enable_private_segment 0
		.amdhsa_system_sgpr_workgroup_id_x 1
		.amdhsa_system_sgpr_workgroup_id_y 1
		.amdhsa_system_sgpr_workgroup_id_z 0
		.amdhsa_system_sgpr_workgroup_info 0
		.amdhsa_system_vgpr_workitem_id 0
		.amdhsa_next_free_vgpr 40
		.amdhsa_next_free_sgpr 28
		.amdhsa_accum_offset 40
		.amdhsa_reserve_vcc 1
		.amdhsa_float_round_mode_32 0
		.amdhsa_float_round_mode_16_64 0
		.amdhsa_float_denorm_mode_32 3
		.amdhsa_float_denorm_mode_16_64 3
		.amdhsa_dx10_clamp 1
		.amdhsa_ieee_mode 1
		.amdhsa_fp16_overflow 0
		.amdhsa_tg_split 0
		.amdhsa_exception_fp_ieee_invalid_op 0
		.amdhsa_exception_fp_denorm_src 0
		.amdhsa_exception_fp_ieee_div_zero 0
		.amdhsa_exception_fp_ieee_overflow 0
		.amdhsa_exception_fp_ieee_underflow 0
		.amdhsa_exception_fp_ieee_inexact 0
		.amdhsa_exception_int_div_zero 0
	.end_amdhsa_kernel
	.section	.text._ZN9rocsolver6v33100L22larf_left_kernel_smallILi1024EdiPKPdEEvT1_S5_T2_lS5_lPKT0_lS6_lS5_l,"axG",@progbits,_ZN9rocsolver6v33100L22larf_left_kernel_smallILi1024EdiPKPdEEvT1_S5_T2_lS5_lPKT0_lS6_lS5_l,comdat
.Lfunc_end14:
	.size	_ZN9rocsolver6v33100L22larf_left_kernel_smallILi1024EdiPKPdEEvT1_S5_T2_lS5_lPKT0_lS6_lS5_l, .Lfunc_end14-_ZN9rocsolver6v33100L22larf_left_kernel_smallILi1024EdiPKPdEEvT1_S5_T2_lS5_lPKT0_lS6_lS5_l
                                        ; -- End function
	.set _ZN9rocsolver6v33100L22larf_left_kernel_smallILi1024EdiPKPdEEvT1_S5_T2_lS5_lPKT0_lS6_lS5_l.num_vgpr, 40
	.set _ZN9rocsolver6v33100L22larf_left_kernel_smallILi1024EdiPKPdEEvT1_S5_T2_lS5_lPKT0_lS6_lS5_l.num_agpr, 0
	.set _ZN9rocsolver6v33100L22larf_left_kernel_smallILi1024EdiPKPdEEvT1_S5_T2_lS5_lPKT0_lS6_lS5_l.numbered_sgpr, 28
	.set _ZN9rocsolver6v33100L22larf_left_kernel_smallILi1024EdiPKPdEEvT1_S5_T2_lS5_lPKT0_lS6_lS5_l.num_named_barrier, 0
	.set _ZN9rocsolver6v33100L22larf_left_kernel_smallILi1024EdiPKPdEEvT1_S5_T2_lS5_lPKT0_lS6_lS5_l.private_seg_size, 0
	.set _ZN9rocsolver6v33100L22larf_left_kernel_smallILi1024EdiPKPdEEvT1_S5_T2_lS5_lPKT0_lS6_lS5_l.uses_vcc, 1
	.set _ZN9rocsolver6v33100L22larf_left_kernel_smallILi1024EdiPKPdEEvT1_S5_T2_lS5_lPKT0_lS6_lS5_l.uses_flat_scratch, 0
	.set _ZN9rocsolver6v33100L22larf_left_kernel_smallILi1024EdiPKPdEEvT1_S5_T2_lS5_lPKT0_lS6_lS5_l.has_dyn_sized_stack, 0
	.set _ZN9rocsolver6v33100L22larf_left_kernel_smallILi1024EdiPKPdEEvT1_S5_T2_lS5_lPKT0_lS6_lS5_l.has_recursion, 0
	.set _ZN9rocsolver6v33100L22larf_left_kernel_smallILi1024EdiPKPdEEvT1_S5_T2_lS5_lPKT0_lS6_lS5_l.has_indirect_call, 0
	.section	.AMDGPU.csdata,"",@progbits
; Kernel info:
; codeLenInByte = 1340
; TotalNumSgprs: 34
; NumVgprs: 40
; NumAgprs: 0
; TotalNumVgprs: 40
; ScratchSize: 0
; MemoryBound: 0
; FloatMode: 240
; IeeeMode: 1
; LDSByteSize: 24576 bytes/workgroup (compile time only)
; SGPRBlocks: 4
; VGPRBlocks: 4
; NumSGPRsForWavesPerEU: 34
; NumVGPRsForWavesPerEU: 40
; AccumOffset: 40
; Occupancy: 8
; WaveLimiterHint : 1
; COMPUTE_PGM_RSRC2:SCRATCH_EN: 0
; COMPUTE_PGM_RSRC2:USER_SGPR: 2
; COMPUTE_PGM_RSRC2:TRAP_HANDLER: 0
; COMPUTE_PGM_RSRC2:TGID_X_EN: 1
; COMPUTE_PGM_RSRC2:TGID_Y_EN: 1
; COMPUTE_PGM_RSRC2:TGID_Z_EN: 0
; COMPUTE_PGM_RSRC2:TIDIG_COMP_CNT: 0
; COMPUTE_PGM_RSRC3_GFX90A:ACCUM_OFFSET: 9
; COMPUTE_PGM_RSRC3_GFX90A:TG_SPLIT: 0
	.section	.text._ZN9rocsolver6v33100L23larf_right_kernel_smallILi64EdiPKPdEEvT1_S5_T2_lS5_lPKT0_lS6_lS5_l,"axG",@progbits,_ZN9rocsolver6v33100L23larf_right_kernel_smallILi64EdiPKPdEEvT1_S5_T2_lS5_lPKT0_lS6_lS5_l,comdat
	.globl	_ZN9rocsolver6v33100L23larf_right_kernel_smallILi64EdiPKPdEEvT1_S5_T2_lS5_lPKT0_lS6_lS5_l ; -- Begin function _ZN9rocsolver6v33100L23larf_right_kernel_smallILi64EdiPKPdEEvT1_S5_T2_lS5_lPKT0_lS6_lS5_l
	.p2align	8
	.type	_ZN9rocsolver6v33100L23larf_right_kernel_smallILi64EdiPKPdEEvT1_S5_T2_lS5_lPKT0_lS6_lS5_l,@function
_ZN9rocsolver6v33100L23larf_right_kernel_smallILi64EdiPKPdEEvT1_S5_T2_lS5_lPKT0_lS6_lS5_l: ; @_ZN9rocsolver6v33100L23larf_right_kernel_smallILi64EdiPKPdEEvT1_S5_T2_lS5_lPKT0_lS6_lS5_l
; %bb.0:
	s_load_dwordx8 s[8:15], s[0:1], 0x28
	s_load_dwordx2 s[16:17], s[0:1], 0x0
	s_mov_b32 s6, s3
	s_ashr_i32 s3, s2, 31
	s_lshl_b64 s[20:21], s[2:3], 3
	s_waitcnt lgkmcnt(0)
	s_add_u32 s4, s12, s20
	s_addc_u32 s5, s13, s21
	s_load_dwordx2 s[12:13], s[4:5], 0x0
	v_cmp_gt_i32_e64 s[4:5], s17, v0
	v_lshlrev_b32_e32 v1, 3, v0
	s_and_saveexec_b64 s[18:19], s[4:5]
	s_cbranch_execz .LBB15_3
; %bb.1:
	s_load_dwordx4 s[24:27], s[0:1], 0x8
	s_load_dword s7, s[0:1], 0x18
	v_lshlrev_b32_e32 v4, 3, v0
	v_mov_b32_e32 v5, v0
	s_waitcnt lgkmcnt(0)
	s_add_u32 s20, s24, s20
	s_addc_u32 s21, s25, s21
	s_load_dwordx2 s[22:23], s[20:21], 0x0
	s_lshl_b64 s[24:25], s[26:27], 3
	v_mul_lo_u32 v2, v0, s7
	s_mov_b64 s[20:21], 0
	s_waitcnt lgkmcnt(0)
	s_add_u32 s22, s22, s24
	s_addc_u32 s23, s23, s25
	s_sub_i32 s24, 1, s17
	s_mul_i32 s24, s7, s24
	s_cmp_lt_i32 s7, 1
	s_cselect_b32 s24, s24, 0
	s_lshl_b32 s7, s7, 6
	v_add_u32_e32 v2, s24, v2
.LBB15_2:                               ; =>This Inner Loop Header: Depth=1
	v_ashrrev_i32_e32 v3, 31, v2
	v_lshl_add_u64 v[6:7], v[2:3], 3, s[22:23]
	flat_load_dwordx2 v[6:7], v[6:7]
	v_add_u32_e32 v5, 64, v5
	v_cmp_le_i32_e32 vcc, s17, v5
	v_add_u32_e32 v2, s7, v2
	s_or_b64 s[20:21], vcc, s[20:21]
	s_waitcnt vmcnt(0) lgkmcnt(0)
	ds_write_b64 v4, v[6:7]
	v_add_u32_e32 v4, 0x200, v4
	s_andn2_b64 exec, exec, s[20:21]
	s_cbranch_execnz .LBB15_2
.LBB15_3:
	s_or_b64 exec, exec, s[18:19]
	s_cmp_ge_i32 s6, s16
	s_waitcnt lgkmcnt(0)
	; wave barrier
	s_cbranch_scc1 .LBB15_21
; %bb.4:
	s_load_dword s7, s[0:1], 0x48
	s_lshl_b64 s[0:1], s[14:15], 3
	s_add_u32 s18, s12, s0
	s_addc_u32 s19, s13, s1
	s_mul_i32 s0, s10, s3
	s_mul_hi_u32 s1, s10, s2
	s_add_i32 s0, s1, s0
	s_mul_i32 s1, s11, s2
	s_add_i32 s1, s0, s1
	s_mul_i32 s0, s10, s2
	s_lshl_b64 s[0:1], s[0:1], 3
	s_add_u32 s0, s8, s0
	s_addc_u32 s1, s9, s1
	v_mbcnt_lo_u32_b32 v2, -1, 0
	s_cmp_gt_i32 s17, 1
	v_mbcnt_hi_u32_b32 v9, -1, v2
	v_mov_b32_e32 v2, 0x80
	s_cselect_b64 s[2:3], -1, 0
	v_cmp_eq_u32_e64 s[8:9], 0, v0
	v_lshrrev_b32_e32 v6, 3, v0
	s_waitcnt lgkmcnt(0)
	v_mul_lo_u32 v7, v0, s7
	s_lshl_b32 s20, s7, 6
	v_mov_b32_e32 v8, 0
	v_and_b32_e32 v10, 63, v9
	v_lshl_or_b32 v11, v9, 2, v2
	s_branch .LBB15_6
.LBB15_5:                               ;   in Loop: Header=BB15_6 Depth=1
	s_or_b64 exec, exec, s[12:13]
	s_add_i32 s6, s6, 64
	s_cmp_ge_i32 s6, s16
	s_cbranch_scc1 .LBB15_21
.LBB15_6:                               ; =>This Loop Header: Depth=1
                                        ;     Child Loop BB15_8 Depth 2
                                        ;     Child Loop BB15_20 Depth 2
	s_ashr_i32 s7, s6, 31
	s_lshl_b64 s[10:11], s[6:7], 3
	s_add_u32 s10, s18, s10
	s_addc_u32 s11, s19, s11
	v_mov_b64_e32 v[2:3], 0
	s_and_saveexec_b64 s[12:13], s[4:5]
	s_cbranch_execz .LBB15_10
; %bb.7:                                ;   in Loop: Header=BB15_6 Depth=1
	v_mov_b64_e32 v[2:3], 0
	s_mov_b64 s[14:15], 0
	v_mov_b32_e32 v4, v7
	v_mov_b32_e32 v12, v1
	;; [unrolled: 1-line block ×3, first 2 shown]
.LBB15_8:                               ;   Parent Loop BB15_6 Depth=1
                                        ; =>  This Inner Loop Header: Depth=2
	v_ashrrev_i32_e32 v5, 31, v4
	v_lshl_add_u64 v[14:15], v[4:5], 3, s[10:11]
	flat_load_dwordx2 v[14:15], v[14:15]
	ds_read_b64 v[16:17], v12
	v_add_u32_e32 v13, 64, v13
	v_cmp_le_i32_e32 vcc, s17, v13
	v_add_u32_e32 v12, 0x200, v12
	v_add_u32_e32 v4, s20, v4
	s_or_b64 s[14:15], vcc, s[14:15]
	s_waitcnt vmcnt(0) lgkmcnt(0)
	v_fmac_f64_e32 v[2:3], v[16:17], v[14:15]
	s_andn2_b64 exec, exec, s[14:15]
	s_cbranch_execnz .LBB15_8
; %bb.9:                                ;   in Loop: Header=BB15_6 Depth=1
	s_or_b64 exec, exec, s[14:15]
.LBB15_10:                              ;   in Loop: Header=BB15_6 Depth=1
	s_or_b64 exec, exec, s[12:13]
	s_and_b64 vcc, exec, s[2:3]
	s_cbranch_vccz .LBB15_15
; %bb.11:                               ;   in Loop: Header=BB15_6 Depth=1
	v_cmp_ne_u32_e32 vcc, 63, v10
	s_nop 1
	v_addc_co_u32_e32 v4, vcc, 0, v9, vcc
	v_lshlrev_b32_e32 v5, 2, v4
	ds_bpermute_b32 v4, v5, v2
	ds_bpermute_b32 v5, v5, v3
	v_cmp_gt_u32_e32 vcc, 62, v10
	s_waitcnt lgkmcnt(0)
	v_add_f64 v[4:5], v[2:3], v[4:5]
	v_cndmask_b32_e64 v12, 0, 2, vcc
	v_add_lshl_u32 v13, v12, v9, 2
	ds_bpermute_b32 v12, v13, v4
	ds_bpermute_b32 v13, v13, v5
	v_cmp_gt_u32_e32 vcc, 60, v10
	s_waitcnt lgkmcnt(0)
	v_add_f64 v[4:5], v[4:5], v[12:13]
	v_cndmask_b32_e64 v12, 0, 4, vcc
	v_add_lshl_u32 v13, v12, v9, 2
	;; [unrolled: 7-line block ×4, first 2 shown]
	ds_bpermute_b32 v12, v13, v4
	ds_bpermute_b32 v13, v13, v5
	s_waitcnt lgkmcnt(0)
	v_add_f64 v[4:5], v[4:5], v[12:13]
	ds_bpermute_b32 v12, v11, v4
	ds_bpermute_b32 v13, v11, v5
	s_waitcnt lgkmcnt(0)
	v_add_f64 v[4:5], v[4:5], v[12:13]
	s_and_saveexec_b64 s[12:13], s[8:9]
; %bb.12:                               ;   in Loop: Header=BB15_6 Depth=1
	ds_write_b64 v6, v[4:5] offset:16384
; %bb.13:                               ;   in Loop: Header=BB15_6 Depth=1
	s_or_b64 exec, exec, s[12:13]
	s_waitcnt lgkmcnt(0)
	; wave barrier
	s_mov_b64 s[12:13], s[8:9]
.LBB15_14:                              ;   in Loop: Header=BB15_6 Depth=1
	v_mov_b64_e32 v[2:3], v[4:5]
	s_and_saveexec_b64 s[14:15], s[12:13]
	s_cbranch_execnz .LBB15_17
	s_branch .LBB15_18
.LBB15_15:                              ;   in Loop: Header=BB15_6 Depth=1
	s_mov_b64 s[12:13], 0
                                        ; implicit-def: $vgpr4_vgpr5
	s_cbranch_execz .LBB15_14
; %bb.16:                               ;   in Loop: Header=BB15_6 Depth=1
	s_andn2_b64 s[12:13], s[12:13], exec
	s_and_b64 s[14:15], s[8:9], exec
	s_or_b64 s[12:13], s[12:13], s[14:15]
	s_and_saveexec_b64 s[14:15], s[12:13]
.LBB15_17:                              ;   in Loop: Header=BB15_6 Depth=1
	ds_write_b64 v8, v[2:3] offset:16384
.LBB15_18:                              ;   in Loop: Header=BB15_6 Depth=1
	s_or_b64 exec, exec, s[14:15]
	s_waitcnt lgkmcnt(0)
	; wave barrier
	s_and_saveexec_b64 s[12:13], s[4:5]
	s_cbranch_execz .LBB15_5
; %bb.19:                               ;   in Loop: Header=BB15_6 Depth=1
	global_load_dwordx2 v[4:5], v8, s[0:1]
	ds_read_b64 v[14:15], v8 offset:16384
	s_mov_b64 s[14:15], 0
	v_mov_b32_e32 v12, v1
	v_mov_b32_e32 v2, v7
	;; [unrolled: 1-line block ×3, first 2 shown]
	s_waitcnt vmcnt(0) lgkmcnt(0)
	v_mul_f64 v[4:5], v[14:15], -v[4:5]
.LBB15_20:                              ;   Parent Loop BB15_6 Depth=1
                                        ; =>  This Inner Loop Header: Depth=2
	v_ashrrev_i32_e32 v3, 31, v2
	v_lshl_add_u64 v[14:15], v[2:3], 3, s[10:11]
	flat_load_dwordx2 v[16:17], v[14:15]
	ds_read_b64 v[18:19], v12
	v_add_u32_e32 v13, 64, v13
	v_cmp_le_i32_e32 vcc, s17, v13
	v_add_u32_e32 v12, 0x200, v12
	v_add_u32_e32 v2, s20, v2
	s_or_b64 s[14:15], vcc, s[14:15]
	s_waitcnt vmcnt(0) lgkmcnt(0)
	v_fmac_f64_e32 v[16:17], v[4:5], v[18:19]
	flat_store_dwordx2 v[14:15], v[16:17]
	s_andn2_b64 exec, exec, s[14:15]
	s_cbranch_execnz .LBB15_20
	s_branch .LBB15_5
.LBB15_21:
	s_endpgm
	.section	.rodata,"a",@progbits
	.p2align	6, 0x0
	.amdhsa_kernel _ZN9rocsolver6v33100L23larf_right_kernel_smallILi64EdiPKPdEEvT1_S5_T2_lS5_lPKT0_lS6_lS5_l
		.amdhsa_group_segment_fixed_size 16392
		.amdhsa_private_segment_fixed_size 0
		.amdhsa_kernarg_size 88
		.amdhsa_user_sgpr_count 2
		.amdhsa_user_sgpr_dispatch_ptr 0
		.amdhsa_user_sgpr_queue_ptr 0
		.amdhsa_user_sgpr_kernarg_segment_ptr 1
		.amdhsa_user_sgpr_dispatch_id 0
		.amdhsa_user_sgpr_kernarg_preload_length 0
		.amdhsa_user_sgpr_kernarg_preload_offset 0
		.amdhsa_user_sgpr_private_segment_size 0
		.amdhsa_uses_dynamic_stack 0
		.amdhsa_enable_private_segment 0
		.amdhsa_system_sgpr_workgroup_id_x 1
		.amdhsa_system_sgpr_workgroup_id_y 1
		.amdhsa_system_sgpr_workgroup_id_z 0
		.amdhsa_system_sgpr_workgroup_info 0
		.amdhsa_system_vgpr_workitem_id 0
		.amdhsa_next_free_vgpr 129
		.amdhsa_next_free_sgpr 96
		.amdhsa_accum_offset 20
		.amdhsa_reserve_vcc 1
		.amdhsa_float_round_mode_32 0
		.amdhsa_float_round_mode_16_64 0
		.amdhsa_float_denorm_mode_32 3
		.amdhsa_float_denorm_mode_16_64 3
		.amdhsa_dx10_clamp 1
		.amdhsa_ieee_mode 1
		.amdhsa_fp16_overflow 0
		.amdhsa_tg_split 0
		.amdhsa_exception_fp_ieee_invalid_op 0
		.amdhsa_exception_fp_denorm_src 0
		.amdhsa_exception_fp_ieee_div_zero 0
		.amdhsa_exception_fp_ieee_overflow 0
		.amdhsa_exception_fp_ieee_underflow 0
		.amdhsa_exception_fp_ieee_inexact 0
		.amdhsa_exception_int_div_zero 0
	.end_amdhsa_kernel
	.section	.text._ZN9rocsolver6v33100L23larf_right_kernel_smallILi64EdiPKPdEEvT1_S5_T2_lS5_lPKT0_lS6_lS5_l,"axG",@progbits,_ZN9rocsolver6v33100L23larf_right_kernel_smallILi64EdiPKPdEEvT1_S5_T2_lS5_lPKT0_lS6_lS5_l,comdat
.Lfunc_end15:
	.size	_ZN9rocsolver6v33100L23larf_right_kernel_smallILi64EdiPKPdEEvT1_S5_T2_lS5_lPKT0_lS6_lS5_l, .Lfunc_end15-_ZN9rocsolver6v33100L23larf_right_kernel_smallILi64EdiPKPdEEvT1_S5_T2_lS5_lPKT0_lS6_lS5_l
                                        ; -- End function
	.set _ZN9rocsolver6v33100L23larf_right_kernel_smallILi64EdiPKPdEEvT1_S5_T2_lS5_lPKT0_lS6_lS5_l.num_vgpr, 20
	.set _ZN9rocsolver6v33100L23larf_right_kernel_smallILi64EdiPKPdEEvT1_S5_T2_lS5_lPKT0_lS6_lS5_l.num_agpr, 0
	.set _ZN9rocsolver6v33100L23larf_right_kernel_smallILi64EdiPKPdEEvT1_S5_T2_lS5_lPKT0_lS6_lS5_l.numbered_sgpr, 28
	.set _ZN9rocsolver6v33100L23larf_right_kernel_smallILi64EdiPKPdEEvT1_S5_T2_lS5_lPKT0_lS6_lS5_l.num_named_barrier, 0
	.set _ZN9rocsolver6v33100L23larf_right_kernel_smallILi64EdiPKPdEEvT1_S5_T2_lS5_lPKT0_lS6_lS5_l.private_seg_size, 0
	.set _ZN9rocsolver6v33100L23larf_right_kernel_smallILi64EdiPKPdEEvT1_S5_T2_lS5_lPKT0_lS6_lS5_l.uses_vcc, 1
	.set _ZN9rocsolver6v33100L23larf_right_kernel_smallILi64EdiPKPdEEvT1_S5_T2_lS5_lPKT0_lS6_lS5_l.uses_flat_scratch, 0
	.set _ZN9rocsolver6v33100L23larf_right_kernel_smallILi64EdiPKPdEEvT1_S5_T2_lS5_lPKT0_lS6_lS5_l.has_dyn_sized_stack, 0
	.set _ZN9rocsolver6v33100L23larf_right_kernel_smallILi64EdiPKPdEEvT1_S5_T2_lS5_lPKT0_lS6_lS5_l.has_recursion, 0
	.set _ZN9rocsolver6v33100L23larf_right_kernel_smallILi64EdiPKPdEEvT1_S5_T2_lS5_lPKT0_lS6_lS5_l.has_indirect_call, 0
	.section	.AMDGPU.csdata,"",@progbits
; Kernel info:
; codeLenInByte = 1008
; TotalNumSgprs: 34
; NumVgprs: 20
; NumAgprs: 0
; TotalNumVgprs: 20
; ScratchSize: 0
; MemoryBound: 0
; FloatMode: 240
; IeeeMode: 1
; LDSByteSize: 16392 bytes/workgroup (compile time only)
; SGPRBlocks: 12
; VGPRBlocks: 16
; NumSGPRsForWavesPerEU: 102
; NumVGPRsForWavesPerEU: 129
; AccumOffset: 20
; Occupancy: 3
; WaveLimiterHint : 1
; COMPUTE_PGM_RSRC2:SCRATCH_EN: 0
; COMPUTE_PGM_RSRC2:USER_SGPR: 2
; COMPUTE_PGM_RSRC2:TRAP_HANDLER: 0
; COMPUTE_PGM_RSRC2:TGID_X_EN: 1
; COMPUTE_PGM_RSRC2:TGID_Y_EN: 1
; COMPUTE_PGM_RSRC2:TGID_Z_EN: 0
; COMPUTE_PGM_RSRC2:TIDIG_COMP_CNT: 0
; COMPUTE_PGM_RSRC3_GFX90A:ACCUM_OFFSET: 4
; COMPUTE_PGM_RSRC3_GFX90A:TG_SPLIT: 0
	.section	.text._ZN9rocsolver6v33100L23larf_right_kernel_smallILi128EdiPKPdEEvT1_S5_T2_lS5_lPKT0_lS6_lS5_l,"axG",@progbits,_ZN9rocsolver6v33100L23larf_right_kernel_smallILi128EdiPKPdEEvT1_S5_T2_lS5_lPKT0_lS6_lS5_l,comdat
	.globl	_ZN9rocsolver6v33100L23larf_right_kernel_smallILi128EdiPKPdEEvT1_S5_T2_lS5_lPKT0_lS6_lS5_l ; -- Begin function _ZN9rocsolver6v33100L23larf_right_kernel_smallILi128EdiPKPdEEvT1_S5_T2_lS5_lPKT0_lS6_lS5_l
	.p2align	8
	.type	_ZN9rocsolver6v33100L23larf_right_kernel_smallILi128EdiPKPdEEvT1_S5_T2_lS5_lPKT0_lS6_lS5_l,@function
_ZN9rocsolver6v33100L23larf_right_kernel_smallILi128EdiPKPdEEvT1_S5_T2_lS5_lPKT0_lS6_lS5_l: ; @_ZN9rocsolver6v33100L23larf_right_kernel_smallILi128EdiPKPdEEvT1_S5_T2_lS5_lPKT0_lS6_lS5_l
; %bb.0:
	s_load_dwordx8 s[8:15], s[0:1], 0x28
	s_load_dwordx2 s[18:19], s[0:1], 0x0
	s_mov_b32 s16, s3
	s_ashr_i32 s3, s2, 31
	s_lshl_b64 s[20:21], s[2:3], 3
	s_waitcnt lgkmcnt(0)
	s_add_u32 s4, s12, s20
	s_addc_u32 s5, s13, s21
	s_load_dwordx2 s[4:5], s[4:5], 0x0
	v_cmp_gt_i32_e64 s[6:7], s19, v0
	v_lshlrev_b32_e32 v1, 3, v0
	s_and_saveexec_b64 s[12:13], s[6:7]
	s_cbranch_execz .LBB16_3
; %bb.1:
	s_load_dwordx4 s[24:27], s[0:1], 0x8
	s_load_dword s17, s[0:1], 0x18
	v_lshlrev_b32_e32 v4, 3, v0
	v_mov_b32_e32 v5, v0
	s_waitcnt lgkmcnt(0)
	s_add_u32 s20, s24, s20
	s_addc_u32 s21, s25, s21
	s_load_dwordx2 s[22:23], s[20:21], 0x0
	s_lshl_b64 s[24:25], s[26:27], 3
	v_mul_lo_u32 v2, v0, s17
	s_mov_b64 s[20:21], 0
	s_waitcnt lgkmcnt(0)
	s_add_u32 s22, s22, s24
	s_addc_u32 s23, s23, s25
	s_sub_i32 s24, 1, s19
	s_mul_i32 s24, s17, s24
	s_cmp_lt_i32 s17, 1
	s_cselect_b32 s24, s24, 0
	s_lshl_b32 s17, s17, 7
	v_add_u32_e32 v2, s24, v2
.LBB16_2:                               ; =>This Inner Loop Header: Depth=1
	v_ashrrev_i32_e32 v3, 31, v2
	v_lshl_add_u64 v[6:7], v[2:3], 3, s[22:23]
	flat_load_dwordx2 v[6:7], v[6:7]
	v_add_u32_e32 v5, 0x80, v5
	v_cmp_le_i32_e32 vcc, s19, v5
	v_add_u32_e32 v2, s17, v2
	s_or_b64 s[20:21], vcc, s[20:21]
	s_waitcnt vmcnt(0) lgkmcnt(0)
	ds_write_b64 v4, v[6:7]
	v_add_u32_e32 v4, 0x400, v4
	s_andn2_b64 exec, exec, s[20:21]
	s_cbranch_execnz .LBB16_2
.LBB16_3:
	s_or_b64 exec, exec, s[12:13]
	s_cmp_ge_i32 s16, s18
	s_waitcnt lgkmcnt(0)
	s_barrier
	s_cbranch_scc1 .LBB16_23
; %bb.4:
	s_load_dword s12, s[0:1], 0x48
	s_lshl_b64 s[0:1], s[14:15], 3
	s_add_u32 s22, s4, s0
	s_addc_u32 s23, s5, s1
	s_mul_i32 s0, s10, s3
	s_mul_hi_u32 s1, s10, s2
	s_add_i32 s0, s1, s0
	s_mul_i32 s1, s11, s2
	s_add_i32 s1, s0, s1
	s_mul_i32 s0, s10, s2
	s_lshl_b64 s[0:1], s[0:1], 3
	s_add_u32 s0, s8, s0
	v_and_b32_e32 v2, 63, v0
	s_addc_u32 s1, s9, s1
	v_cmp_eq_u32_e64 s[2:3], 0, v2
	v_mbcnt_lo_u32_b32 v2, -1, 0
	s_cmp_gt_i32 s19, 1
	v_mbcnt_hi_u32_b32 v11, -1, v2
	v_mov_b32_e32 v2, 0x80
	s_cselect_b64 s[8:9], -1, 0
	v_lshrrev_b32_e32 v8, 3, v0
	v_cmp_eq_u32_e64 s[4:5], 0, v0
	s_waitcnt lgkmcnt(0)
	v_mul_lo_u32 v9, v0, s12
	s_lshl_b32 s24, s12, 7
	v_mov_b32_e32 v10, 0
	v_and_b32_e32 v12, 63, v11
	v_lshl_or_b32 v13, v11, 2, v2
	s_branch .LBB16_6
.LBB16_5:                               ;   in Loop: Header=BB16_6 Depth=1
	s_or_b64 exec, exec, s[12:13]
	s_add_i32 s16, s16, 64
	s_cmp_ge_i32 s16, s18
	s_cbranch_scc1 .LBB16_23
.LBB16_6:                               ; =>This Loop Header: Depth=1
                                        ;     Child Loop BB16_8 Depth 2
                                        ;     Child Loop BB16_22 Depth 2
	s_ashr_i32 s17, s16, 31
	s_lshl_b64 s[10:11], s[16:17], 3
	s_add_u32 s10, s22, s10
	s_addc_u32 s11, s23, s11
	v_mov_b64_e32 v[2:3], 0
	s_and_saveexec_b64 s[12:13], s[6:7]
	s_cbranch_execz .LBB16_10
; %bb.7:                                ;   in Loop: Header=BB16_6 Depth=1
	v_mov_b64_e32 v[2:3], 0
	s_mov_b64 s[14:15], 0
	v_mov_b32_e32 v4, v9
	v_mov_b32_e32 v6, v1
	;; [unrolled: 1-line block ×3, first 2 shown]
.LBB16_8:                               ;   Parent Loop BB16_6 Depth=1
                                        ; =>  This Inner Loop Header: Depth=2
	v_ashrrev_i32_e32 v5, 31, v4
	v_lshl_add_u64 v[14:15], v[4:5], 3, s[10:11]
	flat_load_dwordx2 v[14:15], v[14:15]
	ds_read_b64 v[16:17], v6
	v_add_u32_e32 v7, 0x80, v7
	v_cmp_le_i32_e32 vcc, s19, v7
	v_add_u32_e32 v6, 0x400, v6
	v_add_u32_e32 v4, s24, v4
	s_or_b64 s[14:15], vcc, s[14:15]
	s_waitcnt vmcnt(0) lgkmcnt(0)
	v_fmac_f64_e32 v[2:3], v[16:17], v[14:15]
	s_andn2_b64 exec, exec, s[14:15]
	s_cbranch_execnz .LBB16_8
; %bb.9:                                ;   in Loop: Header=BB16_6 Depth=1
	s_or_b64 exec, exec, s[14:15]
.LBB16_10:                              ;   in Loop: Header=BB16_6 Depth=1
	s_or_b64 exec, exec, s[12:13]
	s_and_b64 vcc, exec, s[8:9]
	s_cbranch_vccz .LBB16_17
; %bb.11:                               ;   in Loop: Header=BB16_6 Depth=1
	v_cmp_ne_u32_e32 vcc, 63, v12
	s_nop 1
	v_addc_co_u32_e32 v4, vcc, 0, v11, vcc
	v_lshlrev_b32_e32 v5, 2, v4
	ds_bpermute_b32 v4, v5, v2
	ds_bpermute_b32 v5, v5, v3
	v_cmp_gt_u32_e32 vcc, 62, v12
	s_waitcnt lgkmcnt(0)
	v_add_f64 v[4:5], v[2:3], v[4:5]
	v_cndmask_b32_e64 v6, 0, 2, vcc
	v_add_lshl_u32 v7, v6, v11, 2
	ds_bpermute_b32 v6, v7, v4
	ds_bpermute_b32 v7, v7, v5
	v_cmp_gt_u32_e32 vcc, 60, v12
	s_waitcnt lgkmcnt(0)
	v_add_f64 v[4:5], v[4:5], v[6:7]
	v_cndmask_b32_e64 v6, 0, 4, vcc
	v_add_lshl_u32 v7, v6, v11, 2
	;; [unrolled: 7-line block ×4, first 2 shown]
	ds_bpermute_b32 v6, v7, v4
	ds_bpermute_b32 v7, v7, v5
	s_waitcnt lgkmcnt(0)
	v_add_f64 v[4:5], v[4:5], v[6:7]
	ds_bpermute_b32 v6, v13, v4
	ds_bpermute_b32 v7, v13, v5
	s_waitcnt lgkmcnt(0)
	v_add_f64 v[6:7], v[4:5], v[6:7]
	s_and_saveexec_b64 s[12:13], s[2:3]
; %bb.12:                               ;   in Loop: Header=BB16_6 Depth=1
	ds_write_b64 v8, v[6:7] offset:16384
; %bb.13:                               ;   in Loop: Header=BB16_6 Depth=1
	s_or_b64 exec, exec, s[12:13]
	s_mov_b64 s[14:15], 0
	s_mov_b64 s[12:13], 0
	s_waitcnt lgkmcnt(0)
	s_barrier
                                        ; implicit-def: $vgpr4_vgpr5
	s_and_saveexec_b64 s[20:21], s[4:5]
	s_xor_b64 s[20:21], exec, s[20:21]
	s_cbranch_execz .LBB16_15
; %bb.14:                               ;   in Loop: Header=BB16_6 Depth=1
	ds_read_b64 v[4:5], v10 offset:16392
	s_mov_b64 s[12:13], exec
	s_waitcnt lgkmcnt(0)
	v_add_f64 v[4:5], v[6:7], v[4:5]
.LBB16_15:                              ;   in Loop: Header=BB16_6 Depth=1
	s_or_b64 exec, exec, s[20:21]
	s_and_b64 vcc, exec, s[14:15]
	s_cbranch_vccnz .LBB16_18
.LBB16_16:                              ;   in Loop: Header=BB16_6 Depth=1
	v_mov_b64_e32 v[2:3], v[4:5]
	s_and_saveexec_b64 s[14:15], s[12:13]
	s_cbranch_execnz .LBB16_19
	s_branch .LBB16_20
.LBB16_17:                              ;   in Loop: Header=BB16_6 Depth=1
	s_mov_b64 s[12:13], 0
                                        ; implicit-def: $vgpr4_vgpr5
	s_cbranch_execz .LBB16_16
.LBB16_18:                              ;   in Loop: Header=BB16_6 Depth=1
	s_andn2_b64 s[12:13], s[12:13], exec
	s_and_b64 s[14:15], s[4:5], exec
	s_or_b64 s[12:13], s[12:13], s[14:15]
	s_and_saveexec_b64 s[14:15], s[12:13]
.LBB16_19:                              ;   in Loop: Header=BB16_6 Depth=1
	ds_write_b64 v10, v[2:3] offset:16384
.LBB16_20:                              ;   in Loop: Header=BB16_6 Depth=1
	s_or_b64 exec, exec, s[14:15]
	s_waitcnt lgkmcnt(0)
	s_barrier
	s_and_saveexec_b64 s[12:13], s[6:7]
	s_cbranch_execz .LBB16_5
; %bb.21:                               ;   in Loop: Header=BB16_6 Depth=1
	global_load_dwordx2 v[4:5], v10, s[0:1]
	ds_read_b64 v[14:15], v10 offset:16384
	s_mov_b64 s[14:15], 0
	v_mov_b32_e32 v6, v1
	v_mov_b32_e32 v2, v9
	;; [unrolled: 1-line block ×3, first 2 shown]
	s_waitcnt vmcnt(0) lgkmcnt(0)
	v_mul_f64 v[4:5], v[14:15], -v[4:5]
.LBB16_22:                              ;   Parent Loop BB16_6 Depth=1
                                        ; =>  This Inner Loop Header: Depth=2
	v_ashrrev_i32_e32 v3, 31, v2
	v_lshl_add_u64 v[14:15], v[2:3], 3, s[10:11]
	flat_load_dwordx2 v[16:17], v[14:15]
	ds_read_b64 v[18:19], v6
	v_add_u32_e32 v7, 0x80, v7
	v_cmp_le_i32_e32 vcc, s19, v7
	v_add_u32_e32 v6, 0x400, v6
	v_add_u32_e32 v2, s24, v2
	s_or_b64 s[14:15], vcc, s[14:15]
	s_waitcnt vmcnt(0) lgkmcnt(0)
	v_fmac_f64_e32 v[16:17], v[4:5], v[18:19]
	flat_store_dwordx2 v[14:15], v[16:17]
	s_andn2_b64 exec, exec, s[14:15]
	s_cbranch_execnz .LBB16_22
	s_branch .LBB16_5
.LBB16_23:
	s_endpgm
	.section	.rodata,"a",@progbits
	.p2align	6, 0x0
	.amdhsa_kernel _ZN9rocsolver6v33100L23larf_right_kernel_smallILi128EdiPKPdEEvT1_S5_T2_lS5_lPKT0_lS6_lS5_l
		.amdhsa_group_segment_fixed_size 16400
		.amdhsa_private_segment_fixed_size 0
		.amdhsa_kernarg_size 88
		.amdhsa_user_sgpr_count 2
		.amdhsa_user_sgpr_dispatch_ptr 0
		.amdhsa_user_sgpr_queue_ptr 0
		.amdhsa_user_sgpr_kernarg_segment_ptr 1
		.amdhsa_user_sgpr_dispatch_id 0
		.amdhsa_user_sgpr_kernarg_preload_length 0
		.amdhsa_user_sgpr_kernarg_preload_offset 0
		.amdhsa_user_sgpr_private_segment_size 0
		.amdhsa_uses_dynamic_stack 0
		.amdhsa_enable_private_segment 0
		.amdhsa_system_sgpr_workgroup_id_x 1
		.amdhsa_system_sgpr_workgroup_id_y 1
		.amdhsa_system_sgpr_workgroup_id_z 0
		.amdhsa_system_sgpr_workgroup_info 0
		.amdhsa_system_vgpr_workitem_id 0
		.amdhsa_next_free_vgpr 81
		.amdhsa_next_free_sgpr 96
		.amdhsa_accum_offset 20
		.amdhsa_reserve_vcc 1
		.amdhsa_float_round_mode_32 0
		.amdhsa_float_round_mode_16_64 0
		.amdhsa_float_denorm_mode_32 3
		.amdhsa_float_denorm_mode_16_64 3
		.amdhsa_dx10_clamp 1
		.amdhsa_ieee_mode 1
		.amdhsa_fp16_overflow 0
		.amdhsa_tg_split 0
		.amdhsa_exception_fp_ieee_invalid_op 0
		.amdhsa_exception_fp_denorm_src 0
		.amdhsa_exception_fp_ieee_div_zero 0
		.amdhsa_exception_fp_ieee_overflow 0
		.amdhsa_exception_fp_ieee_underflow 0
		.amdhsa_exception_fp_ieee_inexact 0
		.amdhsa_exception_int_div_zero 0
	.end_amdhsa_kernel
	.section	.text._ZN9rocsolver6v33100L23larf_right_kernel_smallILi128EdiPKPdEEvT1_S5_T2_lS5_lPKT0_lS6_lS5_l,"axG",@progbits,_ZN9rocsolver6v33100L23larf_right_kernel_smallILi128EdiPKPdEEvT1_S5_T2_lS5_lPKT0_lS6_lS5_l,comdat
.Lfunc_end16:
	.size	_ZN9rocsolver6v33100L23larf_right_kernel_smallILi128EdiPKPdEEvT1_S5_T2_lS5_lPKT0_lS6_lS5_l, .Lfunc_end16-_ZN9rocsolver6v33100L23larf_right_kernel_smallILi128EdiPKPdEEvT1_S5_T2_lS5_lPKT0_lS6_lS5_l
                                        ; -- End function
	.set _ZN9rocsolver6v33100L23larf_right_kernel_smallILi128EdiPKPdEEvT1_S5_T2_lS5_lPKT0_lS6_lS5_l.num_vgpr, 20
	.set _ZN9rocsolver6v33100L23larf_right_kernel_smallILi128EdiPKPdEEvT1_S5_T2_lS5_lPKT0_lS6_lS5_l.num_agpr, 0
	.set _ZN9rocsolver6v33100L23larf_right_kernel_smallILi128EdiPKPdEEvT1_S5_T2_lS5_lPKT0_lS6_lS5_l.numbered_sgpr, 28
	.set _ZN9rocsolver6v33100L23larf_right_kernel_smallILi128EdiPKPdEEvT1_S5_T2_lS5_lPKT0_lS6_lS5_l.num_named_barrier, 0
	.set _ZN9rocsolver6v33100L23larf_right_kernel_smallILi128EdiPKPdEEvT1_S5_T2_lS5_lPKT0_lS6_lS5_l.private_seg_size, 0
	.set _ZN9rocsolver6v33100L23larf_right_kernel_smallILi128EdiPKPdEEvT1_S5_T2_lS5_lPKT0_lS6_lS5_l.uses_vcc, 1
	.set _ZN9rocsolver6v33100L23larf_right_kernel_smallILi128EdiPKPdEEvT1_S5_T2_lS5_lPKT0_lS6_lS5_l.uses_flat_scratch, 0
	.set _ZN9rocsolver6v33100L23larf_right_kernel_smallILi128EdiPKPdEEvT1_S5_T2_lS5_lPKT0_lS6_lS5_l.has_dyn_sized_stack, 0
	.set _ZN9rocsolver6v33100L23larf_right_kernel_smallILi128EdiPKPdEEvT1_S5_T2_lS5_lPKT0_lS6_lS5_l.has_recursion, 0
	.set _ZN9rocsolver6v33100L23larf_right_kernel_smallILi128EdiPKPdEEvT1_S5_T2_lS5_lPKT0_lS6_lS5_l.has_indirect_call, 0
	.section	.AMDGPU.csdata,"",@progbits
; Kernel info:
; codeLenInByte = 1096
; TotalNumSgprs: 34
; NumVgprs: 20
; NumAgprs: 0
; TotalNumVgprs: 20
; ScratchSize: 0
; MemoryBound: 0
; FloatMode: 240
; IeeeMode: 1
; LDSByteSize: 16400 bytes/workgroup (compile time only)
; SGPRBlocks: 12
; VGPRBlocks: 10
; NumSGPRsForWavesPerEU: 102
; NumVGPRsForWavesPerEU: 81
; AccumOffset: 20
; Occupancy: 5
; WaveLimiterHint : 1
; COMPUTE_PGM_RSRC2:SCRATCH_EN: 0
; COMPUTE_PGM_RSRC2:USER_SGPR: 2
; COMPUTE_PGM_RSRC2:TRAP_HANDLER: 0
; COMPUTE_PGM_RSRC2:TGID_X_EN: 1
; COMPUTE_PGM_RSRC2:TGID_Y_EN: 1
; COMPUTE_PGM_RSRC2:TGID_Z_EN: 0
; COMPUTE_PGM_RSRC2:TIDIG_COMP_CNT: 0
; COMPUTE_PGM_RSRC3_GFX90A:ACCUM_OFFSET: 4
; COMPUTE_PGM_RSRC3_GFX90A:TG_SPLIT: 0
	.section	.text._ZN9rocsolver6v33100L23larf_right_kernel_smallILi256EdiPKPdEEvT1_S5_T2_lS5_lPKT0_lS6_lS5_l,"axG",@progbits,_ZN9rocsolver6v33100L23larf_right_kernel_smallILi256EdiPKPdEEvT1_S5_T2_lS5_lPKT0_lS6_lS5_l,comdat
	.globl	_ZN9rocsolver6v33100L23larf_right_kernel_smallILi256EdiPKPdEEvT1_S5_T2_lS5_lPKT0_lS6_lS5_l ; -- Begin function _ZN9rocsolver6v33100L23larf_right_kernel_smallILi256EdiPKPdEEvT1_S5_T2_lS5_lPKT0_lS6_lS5_l
	.p2align	8
	.type	_ZN9rocsolver6v33100L23larf_right_kernel_smallILi256EdiPKPdEEvT1_S5_T2_lS5_lPKT0_lS6_lS5_l,@function
_ZN9rocsolver6v33100L23larf_right_kernel_smallILi256EdiPKPdEEvT1_S5_T2_lS5_lPKT0_lS6_lS5_l: ; @_ZN9rocsolver6v33100L23larf_right_kernel_smallILi256EdiPKPdEEvT1_S5_T2_lS5_lPKT0_lS6_lS5_l
; %bb.0:
	s_load_dwordx8 s[8:15], s[0:1], 0x28
	s_load_dwordx2 s[18:19], s[0:1], 0x0
	s_mov_b32 s16, s3
	s_ashr_i32 s3, s2, 31
	s_lshl_b64 s[20:21], s[2:3], 3
	s_waitcnt lgkmcnt(0)
	s_add_u32 s4, s12, s20
	s_addc_u32 s5, s13, s21
	s_load_dwordx2 s[4:5], s[4:5], 0x0
	v_cmp_gt_i32_e64 s[6:7], s19, v0
	v_lshlrev_b32_e32 v1, 3, v0
	s_and_saveexec_b64 s[12:13], s[6:7]
	s_cbranch_execz .LBB17_3
; %bb.1:
	s_load_dwordx4 s[24:27], s[0:1], 0x8
	s_load_dword s17, s[0:1], 0x18
	v_lshlrev_b32_e32 v4, 3, v0
	v_mov_b32_e32 v5, v0
	s_waitcnt lgkmcnt(0)
	s_add_u32 s20, s24, s20
	s_addc_u32 s21, s25, s21
	s_load_dwordx2 s[22:23], s[20:21], 0x0
	s_lshl_b64 s[24:25], s[26:27], 3
	v_mul_lo_u32 v2, v0, s17
	s_mov_b64 s[20:21], 0
	s_waitcnt lgkmcnt(0)
	s_add_u32 s22, s22, s24
	s_addc_u32 s23, s23, s25
	s_sub_i32 s24, 1, s19
	s_mul_i32 s24, s17, s24
	s_cmp_lt_i32 s17, 1
	s_cselect_b32 s24, s24, 0
	s_lshl_b32 s17, s17, 8
	v_add_u32_e32 v2, s24, v2
.LBB17_2:                               ; =>This Inner Loop Header: Depth=1
	v_ashrrev_i32_e32 v3, 31, v2
	v_lshl_add_u64 v[6:7], v[2:3], 3, s[22:23]
	flat_load_dwordx2 v[6:7], v[6:7]
	v_add_u32_e32 v5, 0x100, v5
	v_cmp_le_i32_e32 vcc, s19, v5
	v_add_u32_e32 v2, s17, v2
	s_or_b64 s[20:21], vcc, s[20:21]
	s_waitcnt vmcnt(0) lgkmcnt(0)
	ds_write_b64 v4, v[6:7]
	v_add_u32_e32 v4, 0x800, v4
	s_andn2_b64 exec, exec, s[20:21]
	s_cbranch_execnz .LBB17_2
.LBB17_3:
	s_or_b64 exec, exec, s[12:13]
	s_cmp_ge_i32 s16, s18
	s_waitcnt lgkmcnt(0)
	s_barrier
	s_cbranch_scc1 .LBB17_23
; %bb.4:
	s_load_dword s12, s[0:1], 0x48
	s_lshl_b64 s[0:1], s[14:15], 3
	s_add_u32 s22, s4, s0
	s_addc_u32 s23, s5, s1
	s_mul_i32 s0, s10, s3
	s_mul_hi_u32 s1, s10, s2
	s_add_i32 s0, s1, s0
	s_mul_i32 s1, s11, s2
	s_add_i32 s1, s0, s1
	s_mul_i32 s0, s10, s2
	s_lshl_b64 s[0:1], s[0:1], 3
	s_add_u32 s0, s8, s0
	v_and_b32_e32 v2, 63, v0
	s_addc_u32 s1, s9, s1
	v_cmp_eq_u32_e64 s[2:3], 0, v2
	v_mbcnt_lo_u32_b32 v2, -1, 0
	s_cmp_gt_i32 s19, 1
	v_mbcnt_hi_u32_b32 v12, -1, v2
	v_mov_b32_e32 v2, 0x80
	s_cselect_b64 s[8:9], -1, 0
	v_lshrrev_b32_e32 v8, 3, v0
	v_cmp_eq_u32_e64 s[4:5], 0, v0
	s_waitcnt lgkmcnt(0)
	v_mul_lo_u32 v9, v0, s12
	s_lshl_b32 s24, s12, 8
	v_mov_b32_e32 v10, 0x4008
	v_mov_b32_e32 v11, 0
	v_and_b32_e32 v13, 63, v12
	v_lshl_or_b32 v14, v12, 2, v2
	s_branch .LBB17_6
.LBB17_5:                               ;   in Loop: Header=BB17_6 Depth=1
	s_or_b64 exec, exec, s[12:13]
	s_add_i32 s16, s16, 64
	s_cmp_ge_i32 s16, s18
	s_cbranch_scc1 .LBB17_23
.LBB17_6:                               ; =>This Loop Header: Depth=1
                                        ;     Child Loop BB17_8 Depth 2
                                        ;     Child Loop BB17_22 Depth 2
	s_ashr_i32 s17, s16, 31
	s_lshl_b64 s[10:11], s[16:17], 3
	s_add_u32 s10, s22, s10
	s_addc_u32 s11, s23, s11
	v_mov_b64_e32 v[2:3], 0
	s_and_saveexec_b64 s[12:13], s[6:7]
	s_cbranch_execz .LBB17_10
; %bb.7:                                ;   in Loop: Header=BB17_6 Depth=1
	v_mov_b64_e32 v[2:3], 0
	s_mov_b64 s[14:15], 0
	v_mov_b32_e32 v4, v9
	v_mov_b32_e32 v6, v1
	;; [unrolled: 1-line block ×3, first 2 shown]
.LBB17_8:                               ;   Parent Loop BB17_6 Depth=1
                                        ; =>  This Inner Loop Header: Depth=2
	v_ashrrev_i32_e32 v5, 31, v4
	v_lshl_add_u64 v[16:17], v[4:5], 3, s[10:11]
	flat_load_dwordx2 v[16:17], v[16:17]
	ds_read_b64 v[18:19], v6
	v_add_u32_e32 v7, 0x100, v7
	v_cmp_le_i32_e32 vcc, s19, v7
	v_add_u32_e32 v6, 0x800, v6
	v_add_u32_e32 v4, s24, v4
	s_or_b64 s[14:15], vcc, s[14:15]
	s_waitcnt vmcnt(0) lgkmcnt(0)
	v_fmac_f64_e32 v[2:3], v[18:19], v[16:17]
	s_andn2_b64 exec, exec, s[14:15]
	s_cbranch_execnz .LBB17_8
; %bb.9:                                ;   in Loop: Header=BB17_6 Depth=1
	s_or_b64 exec, exec, s[14:15]
.LBB17_10:                              ;   in Loop: Header=BB17_6 Depth=1
	s_or_b64 exec, exec, s[12:13]
	s_and_b64 vcc, exec, s[8:9]
	s_cbranch_vccz .LBB17_17
; %bb.11:                               ;   in Loop: Header=BB17_6 Depth=1
	v_cmp_ne_u32_e32 vcc, 63, v13
	s_nop 1
	v_addc_co_u32_e32 v4, vcc, 0, v12, vcc
	v_lshlrev_b32_e32 v5, 2, v4
	ds_bpermute_b32 v4, v5, v2
	ds_bpermute_b32 v5, v5, v3
	v_cmp_gt_u32_e32 vcc, 62, v13
	s_waitcnt lgkmcnt(0)
	v_add_f64 v[4:5], v[2:3], v[4:5]
	v_cndmask_b32_e64 v6, 0, 2, vcc
	v_add_lshl_u32 v7, v6, v12, 2
	ds_bpermute_b32 v6, v7, v4
	ds_bpermute_b32 v7, v7, v5
	v_cmp_gt_u32_e32 vcc, 60, v13
	s_waitcnt lgkmcnt(0)
	v_add_f64 v[4:5], v[4:5], v[6:7]
	v_cndmask_b32_e64 v6, 0, 4, vcc
	v_add_lshl_u32 v7, v6, v12, 2
	;; [unrolled: 7-line block ×4, first 2 shown]
	ds_bpermute_b32 v6, v7, v4
	ds_bpermute_b32 v7, v7, v5
	s_waitcnt lgkmcnt(0)
	v_add_f64 v[4:5], v[4:5], v[6:7]
	ds_bpermute_b32 v6, v14, v4
	ds_bpermute_b32 v7, v14, v5
	s_waitcnt lgkmcnt(0)
	v_add_f64 v[4:5], v[4:5], v[6:7]
	s_and_saveexec_b64 s[12:13], s[2:3]
; %bb.12:                               ;   in Loop: Header=BB17_6 Depth=1
	ds_write_b64 v8, v[4:5] offset:16384
; %bb.13:                               ;   in Loop: Header=BB17_6 Depth=1
	s_or_b64 exec, exec, s[12:13]
	s_mov_b64 s[14:15], 0
	s_mov_b64 s[12:13], 0
	s_waitcnt lgkmcnt(0)
	s_barrier
                                        ; implicit-def: $vgpr6_vgpr7
	s_and_saveexec_b64 s[20:21], s[4:5]
	s_xor_b64 s[20:21], exec, s[20:21]
	s_cbranch_execz .LBB17_15
; %bb.14:                               ;   in Loop: Header=BB17_6 Depth=1
	ds_read2_b64 v[16:19], v10 offset1:1
	ds_read_b64 v[6:7], v11 offset:16408
	s_mov_b64 s[12:13], exec
	s_waitcnt lgkmcnt(0)
	v_add_f64 v[4:5], v[4:5], v[16:17]
	v_add_f64 v[4:5], v[4:5], v[18:19]
	s_waitcnt lgkmcnt(0)
	v_add_f64 v[6:7], v[4:5], v[6:7]
.LBB17_15:                              ;   in Loop: Header=BB17_6 Depth=1
	s_or_b64 exec, exec, s[20:21]
	s_and_b64 vcc, exec, s[14:15]
	s_cbranch_vccnz .LBB17_18
.LBB17_16:                              ;   in Loop: Header=BB17_6 Depth=1
	v_mov_b64_e32 v[2:3], v[6:7]
	s_and_saveexec_b64 s[14:15], s[12:13]
	s_cbranch_execnz .LBB17_19
	s_branch .LBB17_20
.LBB17_17:                              ;   in Loop: Header=BB17_6 Depth=1
	s_mov_b64 s[12:13], 0
                                        ; implicit-def: $vgpr6_vgpr7
	s_cbranch_execz .LBB17_16
.LBB17_18:                              ;   in Loop: Header=BB17_6 Depth=1
	s_andn2_b64 s[12:13], s[12:13], exec
	s_and_b64 s[14:15], s[4:5], exec
	s_or_b64 s[12:13], s[12:13], s[14:15]
	s_and_saveexec_b64 s[14:15], s[12:13]
.LBB17_19:                              ;   in Loop: Header=BB17_6 Depth=1
	ds_write_b64 v11, v[2:3] offset:16384
.LBB17_20:                              ;   in Loop: Header=BB17_6 Depth=1
	s_or_b64 exec, exec, s[14:15]
	s_waitcnt lgkmcnt(0)
	s_barrier
	s_and_saveexec_b64 s[12:13], s[6:7]
	s_cbranch_execz .LBB17_5
; %bb.21:                               ;   in Loop: Header=BB17_6 Depth=1
	global_load_dwordx2 v[4:5], v11, s[0:1]
	ds_read_b64 v[16:17], v11 offset:16384
	s_mov_b64 s[14:15], 0
	v_mov_b32_e32 v6, v1
	v_mov_b32_e32 v2, v9
	;; [unrolled: 1-line block ×3, first 2 shown]
	s_waitcnt vmcnt(0) lgkmcnt(0)
	v_mul_f64 v[4:5], v[16:17], -v[4:5]
.LBB17_22:                              ;   Parent Loop BB17_6 Depth=1
                                        ; =>  This Inner Loop Header: Depth=2
	v_ashrrev_i32_e32 v3, 31, v2
	v_lshl_add_u64 v[16:17], v[2:3], 3, s[10:11]
	flat_load_dwordx2 v[18:19], v[16:17]
	ds_read_b64 v[20:21], v6
	v_add_u32_e32 v7, 0x100, v7
	v_cmp_le_i32_e32 vcc, s19, v7
	v_add_u32_e32 v6, 0x800, v6
	v_add_u32_e32 v2, s24, v2
	s_or_b64 s[14:15], vcc, s[14:15]
	s_waitcnt vmcnt(0) lgkmcnt(0)
	v_fmac_f64_e32 v[18:19], v[4:5], v[20:21]
	flat_store_dwordx2 v[16:17], v[18:19]
	s_andn2_b64 exec, exec, s[14:15]
	s_cbranch_execnz .LBB17_22
	s_branch .LBB17_5
.LBB17_23:
	s_endpgm
	.section	.rodata,"a",@progbits
	.p2align	6, 0x0
	.amdhsa_kernel _ZN9rocsolver6v33100L23larf_right_kernel_smallILi256EdiPKPdEEvT1_S5_T2_lS5_lPKT0_lS6_lS5_l
		.amdhsa_group_segment_fixed_size 16416
		.amdhsa_private_segment_fixed_size 0
		.amdhsa_kernarg_size 88
		.amdhsa_user_sgpr_count 2
		.amdhsa_user_sgpr_dispatch_ptr 0
		.amdhsa_user_sgpr_queue_ptr 0
		.amdhsa_user_sgpr_kernarg_segment_ptr 1
		.amdhsa_user_sgpr_dispatch_id 0
		.amdhsa_user_sgpr_kernarg_preload_length 0
		.amdhsa_user_sgpr_kernarg_preload_offset 0
		.amdhsa_user_sgpr_private_segment_size 0
		.amdhsa_uses_dynamic_stack 0
		.amdhsa_enable_private_segment 0
		.amdhsa_system_sgpr_workgroup_id_x 1
		.amdhsa_system_sgpr_workgroup_id_y 1
		.amdhsa_system_sgpr_workgroup_id_z 0
		.amdhsa_system_sgpr_workgroup_info 0
		.amdhsa_system_vgpr_workitem_id 0
		.amdhsa_next_free_vgpr 22
		.amdhsa_next_free_sgpr 28
		.amdhsa_accum_offset 24
		.amdhsa_reserve_vcc 1
		.amdhsa_float_round_mode_32 0
		.amdhsa_float_round_mode_16_64 0
		.amdhsa_float_denorm_mode_32 3
		.amdhsa_float_denorm_mode_16_64 3
		.amdhsa_dx10_clamp 1
		.amdhsa_ieee_mode 1
		.amdhsa_fp16_overflow 0
		.amdhsa_tg_split 0
		.amdhsa_exception_fp_ieee_invalid_op 0
		.amdhsa_exception_fp_denorm_src 0
		.amdhsa_exception_fp_ieee_div_zero 0
		.amdhsa_exception_fp_ieee_overflow 0
		.amdhsa_exception_fp_ieee_underflow 0
		.amdhsa_exception_fp_ieee_inexact 0
		.amdhsa_exception_int_div_zero 0
	.end_amdhsa_kernel
	.section	.text._ZN9rocsolver6v33100L23larf_right_kernel_smallILi256EdiPKPdEEvT1_S5_T2_lS5_lPKT0_lS6_lS5_l,"axG",@progbits,_ZN9rocsolver6v33100L23larf_right_kernel_smallILi256EdiPKPdEEvT1_S5_T2_lS5_lPKT0_lS6_lS5_l,comdat
.Lfunc_end17:
	.size	_ZN9rocsolver6v33100L23larf_right_kernel_smallILi256EdiPKPdEEvT1_S5_T2_lS5_lPKT0_lS6_lS5_l, .Lfunc_end17-_ZN9rocsolver6v33100L23larf_right_kernel_smallILi256EdiPKPdEEvT1_S5_T2_lS5_lPKT0_lS6_lS5_l
                                        ; -- End function
	.set _ZN9rocsolver6v33100L23larf_right_kernel_smallILi256EdiPKPdEEvT1_S5_T2_lS5_lPKT0_lS6_lS5_l.num_vgpr, 22
	.set _ZN9rocsolver6v33100L23larf_right_kernel_smallILi256EdiPKPdEEvT1_S5_T2_lS5_lPKT0_lS6_lS5_l.num_agpr, 0
	.set _ZN9rocsolver6v33100L23larf_right_kernel_smallILi256EdiPKPdEEvT1_S5_T2_lS5_lPKT0_lS6_lS5_l.numbered_sgpr, 28
	.set _ZN9rocsolver6v33100L23larf_right_kernel_smallILi256EdiPKPdEEvT1_S5_T2_lS5_lPKT0_lS6_lS5_l.num_named_barrier, 0
	.set _ZN9rocsolver6v33100L23larf_right_kernel_smallILi256EdiPKPdEEvT1_S5_T2_lS5_lPKT0_lS6_lS5_l.private_seg_size, 0
	.set _ZN9rocsolver6v33100L23larf_right_kernel_smallILi256EdiPKPdEEvT1_S5_T2_lS5_lPKT0_lS6_lS5_l.uses_vcc, 1
	.set _ZN9rocsolver6v33100L23larf_right_kernel_smallILi256EdiPKPdEEvT1_S5_T2_lS5_lPKT0_lS6_lS5_l.uses_flat_scratch, 0
	.set _ZN9rocsolver6v33100L23larf_right_kernel_smallILi256EdiPKPdEEvT1_S5_T2_lS5_lPKT0_lS6_lS5_l.has_dyn_sized_stack, 0
	.set _ZN9rocsolver6v33100L23larf_right_kernel_smallILi256EdiPKPdEEvT1_S5_T2_lS5_lPKT0_lS6_lS5_l.has_recursion, 0
	.set _ZN9rocsolver6v33100L23larf_right_kernel_smallILi256EdiPKPdEEvT1_S5_T2_lS5_lPKT0_lS6_lS5_l.has_indirect_call, 0
	.section	.AMDGPU.csdata,"",@progbits
; Kernel info:
; codeLenInByte = 1132
; TotalNumSgprs: 34
; NumVgprs: 22
; NumAgprs: 0
; TotalNumVgprs: 22
; ScratchSize: 0
; MemoryBound: 0
; FloatMode: 240
; IeeeMode: 1
; LDSByteSize: 16416 bytes/workgroup (compile time only)
; SGPRBlocks: 4
; VGPRBlocks: 2
; NumSGPRsForWavesPerEU: 34
; NumVGPRsForWavesPerEU: 22
; AccumOffset: 24
; Occupancy: 8
; WaveLimiterHint : 1
; COMPUTE_PGM_RSRC2:SCRATCH_EN: 0
; COMPUTE_PGM_RSRC2:USER_SGPR: 2
; COMPUTE_PGM_RSRC2:TRAP_HANDLER: 0
; COMPUTE_PGM_RSRC2:TGID_X_EN: 1
; COMPUTE_PGM_RSRC2:TGID_Y_EN: 1
; COMPUTE_PGM_RSRC2:TGID_Z_EN: 0
; COMPUTE_PGM_RSRC2:TIDIG_COMP_CNT: 0
; COMPUTE_PGM_RSRC3_GFX90A:ACCUM_OFFSET: 5
; COMPUTE_PGM_RSRC3_GFX90A:TG_SPLIT: 0
	.section	.text._ZN9rocsolver6v33100L23larf_right_kernel_smallILi512EdiPKPdEEvT1_S5_T2_lS5_lPKT0_lS6_lS5_l,"axG",@progbits,_ZN9rocsolver6v33100L23larf_right_kernel_smallILi512EdiPKPdEEvT1_S5_T2_lS5_lPKT0_lS6_lS5_l,comdat
	.globl	_ZN9rocsolver6v33100L23larf_right_kernel_smallILi512EdiPKPdEEvT1_S5_T2_lS5_lPKT0_lS6_lS5_l ; -- Begin function _ZN9rocsolver6v33100L23larf_right_kernel_smallILi512EdiPKPdEEvT1_S5_T2_lS5_lPKT0_lS6_lS5_l
	.p2align	8
	.type	_ZN9rocsolver6v33100L23larf_right_kernel_smallILi512EdiPKPdEEvT1_S5_T2_lS5_lPKT0_lS6_lS5_l,@function
_ZN9rocsolver6v33100L23larf_right_kernel_smallILi512EdiPKPdEEvT1_S5_T2_lS5_lPKT0_lS6_lS5_l: ; @_ZN9rocsolver6v33100L23larf_right_kernel_smallILi512EdiPKPdEEvT1_S5_T2_lS5_lPKT0_lS6_lS5_l
; %bb.0:
	s_load_dwordx8 s[8:15], s[0:1], 0x28
	s_load_dwordx2 s[18:19], s[0:1], 0x0
	s_mov_b32 s16, s3
	s_ashr_i32 s3, s2, 31
	s_lshl_b64 s[20:21], s[2:3], 3
	s_waitcnt lgkmcnt(0)
	s_add_u32 s4, s12, s20
	s_addc_u32 s5, s13, s21
	s_load_dwordx2 s[4:5], s[4:5], 0x0
	v_cmp_gt_i32_e64 s[6:7], s19, v0
	v_lshlrev_b32_e32 v1, 3, v0
	s_and_saveexec_b64 s[12:13], s[6:7]
	s_cbranch_execz .LBB18_3
; %bb.1:
	s_load_dwordx4 s[24:27], s[0:1], 0x8
	s_load_dword s17, s[0:1], 0x18
	v_lshlrev_b32_e32 v4, 3, v0
	v_mov_b32_e32 v5, v0
	s_waitcnt lgkmcnt(0)
	s_add_u32 s20, s24, s20
	s_addc_u32 s21, s25, s21
	s_load_dwordx2 s[22:23], s[20:21], 0x0
	s_lshl_b64 s[24:25], s[26:27], 3
	v_mul_lo_u32 v2, v0, s17
	s_mov_b64 s[20:21], 0
	s_waitcnt lgkmcnt(0)
	s_add_u32 s22, s22, s24
	s_addc_u32 s23, s23, s25
	s_sub_i32 s24, 1, s19
	s_mul_i32 s24, s17, s24
	s_cmp_lt_i32 s17, 1
	s_cselect_b32 s24, s24, 0
	s_lshl_b32 s17, s17, 9
	v_add_u32_e32 v2, s24, v2
.LBB18_2:                               ; =>This Inner Loop Header: Depth=1
	v_ashrrev_i32_e32 v3, 31, v2
	v_lshl_add_u64 v[6:7], v[2:3], 3, s[22:23]
	flat_load_dwordx2 v[6:7], v[6:7]
	v_add_u32_e32 v5, 0x200, v5
	v_cmp_le_i32_e32 vcc, s19, v5
	v_add_u32_e32 v2, s17, v2
	s_or_b64 s[20:21], vcc, s[20:21]
	s_waitcnt vmcnt(0) lgkmcnt(0)
	ds_write_b64 v4, v[6:7]
	v_add_u32_e32 v4, 0x1000, v4
	s_andn2_b64 exec, exec, s[20:21]
	s_cbranch_execnz .LBB18_2
.LBB18_3:
	s_or_b64 exec, exec, s[12:13]
	s_cmp_ge_i32 s16, s18
	s_waitcnt lgkmcnt(0)
	s_barrier
	s_cbranch_scc1 .LBB18_23
; %bb.4:
	s_load_dword s12, s[0:1], 0x48
	s_lshl_b64 s[0:1], s[14:15], 3
	s_add_u32 s22, s4, s0
	s_addc_u32 s23, s5, s1
	s_mul_i32 s0, s10, s3
	s_mul_hi_u32 s1, s10, s2
	s_add_i32 s0, s1, s0
	s_mul_i32 s1, s11, s2
	s_add_i32 s1, s0, s1
	s_mul_i32 s0, s10, s2
	s_lshl_b64 s[0:1], s[0:1], 3
	s_add_u32 s0, s8, s0
	v_and_b32_e32 v2, 63, v0
	s_addc_u32 s1, s9, s1
	v_cmp_eq_u32_e64 s[2:3], 0, v2
	v_mbcnt_lo_u32_b32 v2, -1, 0
	s_cmp_gt_i32 s19, 1
	v_mbcnt_hi_u32_b32 v14, -1, v2
	v_mov_b32_e32 v2, 0x80
	s_cselect_b64 s[8:9], -1, 0
	v_lshrrev_b32_e32 v8, 3, v0
	v_cmp_eq_u32_e64 s[4:5], 0, v0
	s_waitcnt lgkmcnt(0)
	v_mul_lo_u32 v9, v0, s12
	s_lshl_b32 s24, s12, 9
	v_mov_b32_e32 v10, 0x4008
	v_mov_b32_e32 v11, 0x4018
	;; [unrolled: 1-line block ×4, first 2 shown]
	v_and_b32_e32 v15, 63, v14
	v_lshl_or_b32 v16, v14, 2, v2
	s_branch .LBB18_6
.LBB18_5:                               ;   in Loop: Header=BB18_6 Depth=1
	s_or_b64 exec, exec, s[12:13]
	s_add_i32 s16, s16, 64
	s_cmp_ge_i32 s16, s18
	s_cbranch_scc1 .LBB18_23
.LBB18_6:                               ; =>This Loop Header: Depth=1
                                        ;     Child Loop BB18_8 Depth 2
                                        ;     Child Loop BB18_22 Depth 2
	s_ashr_i32 s17, s16, 31
	s_lshl_b64 s[10:11], s[16:17], 3
	s_add_u32 s10, s22, s10
	s_addc_u32 s11, s23, s11
	v_mov_b64_e32 v[2:3], 0
	s_and_saveexec_b64 s[12:13], s[6:7]
	s_cbranch_execz .LBB18_10
; %bb.7:                                ;   in Loop: Header=BB18_6 Depth=1
	v_mov_b64_e32 v[2:3], 0
	s_mov_b64 s[14:15], 0
	v_mov_b32_e32 v4, v9
	v_mov_b32_e32 v6, v1
	;; [unrolled: 1-line block ×3, first 2 shown]
.LBB18_8:                               ;   Parent Loop BB18_6 Depth=1
                                        ; =>  This Inner Loop Header: Depth=2
	v_ashrrev_i32_e32 v5, 31, v4
	v_lshl_add_u64 v[18:19], v[4:5], 3, s[10:11]
	flat_load_dwordx2 v[18:19], v[18:19]
	ds_read_b64 v[20:21], v6
	v_add_u32_e32 v7, 0x200, v7
	v_cmp_le_i32_e32 vcc, s19, v7
	v_add_u32_e32 v6, 0x1000, v6
	v_add_u32_e32 v4, s24, v4
	s_or_b64 s[14:15], vcc, s[14:15]
	s_waitcnt vmcnt(0) lgkmcnt(0)
	v_fmac_f64_e32 v[2:3], v[20:21], v[18:19]
	s_andn2_b64 exec, exec, s[14:15]
	s_cbranch_execnz .LBB18_8
; %bb.9:                                ;   in Loop: Header=BB18_6 Depth=1
	s_or_b64 exec, exec, s[14:15]
.LBB18_10:                              ;   in Loop: Header=BB18_6 Depth=1
	s_or_b64 exec, exec, s[12:13]
	s_and_b64 vcc, exec, s[8:9]
	s_cbranch_vccz .LBB18_17
; %bb.11:                               ;   in Loop: Header=BB18_6 Depth=1
	v_cmp_ne_u32_e32 vcc, 63, v15
	s_nop 1
	v_addc_co_u32_e32 v4, vcc, 0, v14, vcc
	v_lshlrev_b32_e32 v5, 2, v4
	ds_bpermute_b32 v4, v5, v2
	ds_bpermute_b32 v5, v5, v3
	v_cmp_gt_u32_e32 vcc, 62, v15
	s_waitcnt lgkmcnt(0)
	v_add_f64 v[4:5], v[2:3], v[4:5]
	v_cndmask_b32_e64 v6, 0, 2, vcc
	v_add_lshl_u32 v7, v6, v14, 2
	ds_bpermute_b32 v6, v7, v4
	ds_bpermute_b32 v7, v7, v5
	v_cmp_gt_u32_e32 vcc, 60, v15
	s_waitcnt lgkmcnt(0)
	v_add_f64 v[4:5], v[4:5], v[6:7]
	v_cndmask_b32_e64 v6, 0, 4, vcc
	v_add_lshl_u32 v7, v6, v14, 2
	;; [unrolled: 7-line block ×4, first 2 shown]
	ds_bpermute_b32 v6, v7, v4
	ds_bpermute_b32 v7, v7, v5
	s_waitcnt lgkmcnt(0)
	v_add_f64 v[4:5], v[4:5], v[6:7]
	ds_bpermute_b32 v6, v16, v4
	ds_bpermute_b32 v7, v16, v5
	s_waitcnt lgkmcnt(0)
	v_add_f64 v[4:5], v[4:5], v[6:7]
	s_and_saveexec_b64 s[12:13], s[2:3]
; %bb.12:                               ;   in Loop: Header=BB18_6 Depth=1
	ds_write_b64 v8, v[4:5] offset:16384
; %bb.13:                               ;   in Loop: Header=BB18_6 Depth=1
	s_or_b64 exec, exec, s[12:13]
	s_mov_b64 s[14:15], 0
	s_mov_b64 s[12:13], 0
	s_waitcnt lgkmcnt(0)
	s_barrier
                                        ; implicit-def: $vgpr6_vgpr7
	s_and_saveexec_b64 s[20:21], s[4:5]
	s_xor_b64 s[20:21], exec, s[20:21]
	s_cbranch_execz .LBB18_15
; %bb.14:                               ;   in Loop: Header=BB18_6 Depth=1
	ds_read2_b64 v[18:21], v10 offset1:1
	ds_read2_b64 v[22:25], v11 offset1:1
	;; [unrolled: 1-line block ×3, first 2 shown]
	ds_read_b64 v[6:7], v13 offset:16440
	s_mov_b64 s[12:13], exec
	s_waitcnt lgkmcnt(0)
	v_add_f64 v[4:5], v[4:5], v[18:19]
	v_add_f64 v[4:5], v[4:5], v[20:21]
	s_waitcnt lgkmcnt(2)
	v_add_f64 v[4:5], v[4:5], v[22:23]
	v_add_f64 v[4:5], v[4:5], v[24:25]
	;; [unrolled: 3-line block ×3, first 2 shown]
	s_waitcnt lgkmcnt(0)
	v_add_f64 v[6:7], v[4:5], v[6:7]
.LBB18_15:                              ;   in Loop: Header=BB18_6 Depth=1
	s_or_b64 exec, exec, s[20:21]
	s_and_b64 vcc, exec, s[14:15]
	s_cbranch_vccnz .LBB18_18
.LBB18_16:                              ;   in Loop: Header=BB18_6 Depth=1
	v_mov_b64_e32 v[2:3], v[6:7]
	s_and_saveexec_b64 s[14:15], s[12:13]
	s_cbranch_execnz .LBB18_19
	s_branch .LBB18_20
.LBB18_17:                              ;   in Loop: Header=BB18_6 Depth=1
	s_mov_b64 s[12:13], 0
                                        ; implicit-def: $vgpr6_vgpr7
	s_cbranch_execz .LBB18_16
.LBB18_18:                              ;   in Loop: Header=BB18_6 Depth=1
	s_andn2_b64 s[12:13], s[12:13], exec
	s_and_b64 s[14:15], s[4:5], exec
	s_or_b64 s[12:13], s[12:13], s[14:15]
	s_and_saveexec_b64 s[14:15], s[12:13]
.LBB18_19:                              ;   in Loop: Header=BB18_6 Depth=1
	ds_write_b64 v13, v[2:3] offset:16384
.LBB18_20:                              ;   in Loop: Header=BB18_6 Depth=1
	s_or_b64 exec, exec, s[14:15]
	s_waitcnt lgkmcnt(0)
	s_barrier
	s_and_saveexec_b64 s[12:13], s[6:7]
	s_cbranch_execz .LBB18_5
; %bb.21:                               ;   in Loop: Header=BB18_6 Depth=1
	global_load_dwordx2 v[4:5], v13, s[0:1]
	ds_read_b64 v[18:19], v13 offset:16384
	s_mov_b64 s[14:15], 0
	v_mov_b32_e32 v6, v1
	v_mov_b32_e32 v2, v9
	;; [unrolled: 1-line block ×3, first 2 shown]
	s_waitcnt vmcnt(0) lgkmcnt(0)
	v_mul_f64 v[4:5], v[18:19], -v[4:5]
.LBB18_22:                              ;   Parent Loop BB18_6 Depth=1
                                        ; =>  This Inner Loop Header: Depth=2
	v_ashrrev_i32_e32 v3, 31, v2
	v_lshl_add_u64 v[18:19], v[2:3], 3, s[10:11]
	flat_load_dwordx2 v[20:21], v[18:19]
	ds_read_b64 v[22:23], v6
	v_add_u32_e32 v7, 0x200, v7
	v_cmp_le_i32_e32 vcc, s19, v7
	v_add_u32_e32 v6, 0x1000, v6
	v_add_u32_e32 v2, s24, v2
	s_or_b64 s[14:15], vcc, s[14:15]
	s_waitcnt vmcnt(0) lgkmcnt(0)
	v_fmac_f64_e32 v[20:21], v[4:5], v[22:23]
	flat_store_dwordx2 v[18:19], v[20:21]
	s_andn2_b64 exec, exec, s[14:15]
	s_cbranch_execnz .LBB18_22
	s_branch .LBB18_5
.LBB18_23:
	s_endpgm
	.section	.rodata,"a",@progbits
	.p2align	6, 0x0
	.amdhsa_kernel _ZN9rocsolver6v33100L23larf_right_kernel_smallILi512EdiPKPdEEvT1_S5_T2_lS5_lPKT0_lS6_lS5_l
		.amdhsa_group_segment_fixed_size 16448
		.amdhsa_private_segment_fixed_size 0
		.amdhsa_kernarg_size 88
		.amdhsa_user_sgpr_count 2
		.amdhsa_user_sgpr_dispatch_ptr 0
		.amdhsa_user_sgpr_queue_ptr 0
		.amdhsa_user_sgpr_kernarg_segment_ptr 1
		.amdhsa_user_sgpr_dispatch_id 0
		.amdhsa_user_sgpr_kernarg_preload_length 0
		.amdhsa_user_sgpr_kernarg_preload_offset 0
		.amdhsa_user_sgpr_private_segment_size 0
		.amdhsa_uses_dynamic_stack 0
		.amdhsa_enable_private_segment 0
		.amdhsa_system_sgpr_workgroup_id_x 1
		.amdhsa_system_sgpr_workgroup_id_y 1
		.amdhsa_system_sgpr_workgroup_id_z 0
		.amdhsa_system_sgpr_workgroup_info 0
		.amdhsa_system_vgpr_workitem_id 0
		.amdhsa_next_free_vgpr 30
		.amdhsa_next_free_sgpr 28
		.amdhsa_accum_offset 32
		.amdhsa_reserve_vcc 1
		.amdhsa_float_round_mode_32 0
		.amdhsa_float_round_mode_16_64 0
		.amdhsa_float_denorm_mode_32 3
		.amdhsa_float_denorm_mode_16_64 3
		.amdhsa_dx10_clamp 1
		.amdhsa_ieee_mode 1
		.amdhsa_fp16_overflow 0
		.amdhsa_tg_split 0
		.amdhsa_exception_fp_ieee_invalid_op 0
		.amdhsa_exception_fp_denorm_src 0
		.amdhsa_exception_fp_ieee_div_zero 0
		.amdhsa_exception_fp_ieee_overflow 0
		.amdhsa_exception_fp_ieee_underflow 0
		.amdhsa_exception_fp_ieee_inexact 0
		.amdhsa_exception_int_div_zero 0
	.end_amdhsa_kernel
	.section	.text._ZN9rocsolver6v33100L23larf_right_kernel_smallILi512EdiPKPdEEvT1_S5_T2_lS5_lPKT0_lS6_lS5_l,"axG",@progbits,_ZN9rocsolver6v33100L23larf_right_kernel_smallILi512EdiPKPdEEvT1_S5_T2_lS5_lPKT0_lS6_lS5_l,comdat
.Lfunc_end18:
	.size	_ZN9rocsolver6v33100L23larf_right_kernel_smallILi512EdiPKPdEEvT1_S5_T2_lS5_lPKT0_lS6_lS5_l, .Lfunc_end18-_ZN9rocsolver6v33100L23larf_right_kernel_smallILi512EdiPKPdEEvT1_S5_T2_lS5_lPKT0_lS6_lS5_l
                                        ; -- End function
	.set _ZN9rocsolver6v33100L23larf_right_kernel_smallILi512EdiPKPdEEvT1_S5_T2_lS5_lPKT0_lS6_lS5_l.num_vgpr, 30
	.set _ZN9rocsolver6v33100L23larf_right_kernel_smallILi512EdiPKPdEEvT1_S5_T2_lS5_lPKT0_lS6_lS5_l.num_agpr, 0
	.set _ZN9rocsolver6v33100L23larf_right_kernel_smallILi512EdiPKPdEEvT1_S5_T2_lS5_lPKT0_lS6_lS5_l.numbered_sgpr, 28
	.set _ZN9rocsolver6v33100L23larf_right_kernel_smallILi512EdiPKPdEEvT1_S5_T2_lS5_lPKT0_lS6_lS5_l.num_named_barrier, 0
	.set _ZN9rocsolver6v33100L23larf_right_kernel_smallILi512EdiPKPdEEvT1_S5_T2_lS5_lPKT0_lS6_lS5_l.private_seg_size, 0
	.set _ZN9rocsolver6v33100L23larf_right_kernel_smallILi512EdiPKPdEEvT1_S5_T2_lS5_lPKT0_lS6_lS5_l.uses_vcc, 1
	.set _ZN9rocsolver6v33100L23larf_right_kernel_smallILi512EdiPKPdEEvT1_S5_T2_lS5_lPKT0_lS6_lS5_l.uses_flat_scratch, 0
	.set _ZN9rocsolver6v33100L23larf_right_kernel_smallILi512EdiPKPdEEvT1_S5_T2_lS5_lPKT0_lS6_lS5_l.has_dyn_sized_stack, 0
	.set _ZN9rocsolver6v33100L23larf_right_kernel_smallILi512EdiPKPdEEvT1_S5_T2_lS5_lPKT0_lS6_lS5_l.has_recursion, 0
	.set _ZN9rocsolver6v33100L23larf_right_kernel_smallILi512EdiPKPdEEvT1_S5_T2_lS5_lPKT0_lS6_lS5_l.has_indirect_call, 0
	.section	.AMDGPU.csdata,"",@progbits
; Kernel info:
; codeLenInByte = 1204
; TotalNumSgprs: 34
; NumVgprs: 30
; NumAgprs: 0
; TotalNumVgprs: 30
; ScratchSize: 0
; MemoryBound: 0
; FloatMode: 240
; IeeeMode: 1
; LDSByteSize: 16448 bytes/workgroup (compile time only)
; SGPRBlocks: 4
; VGPRBlocks: 3
; NumSGPRsForWavesPerEU: 34
; NumVGPRsForWavesPerEU: 30
; AccumOffset: 32
; Occupancy: 8
; WaveLimiterHint : 1
; COMPUTE_PGM_RSRC2:SCRATCH_EN: 0
; COMPUTE_PGM_RSRC2:USER_SGPR: 2
; COMPUTE_PGM_RSRC2:TRAP_HANDLER: 0
; COMPUTE_PGM_RSRC2:TGID_X_EN: 1
; COMPUTE_PGM_RSRC2:TGID_Y_EN: 1
; COMPUTE_PGM_RSRC2:TGID_Z_EN: 0
; COMPUTE_PGM_RSRC2:TIDIG_COMP_CNT: 0
; COMPUTE_PGM_RSRC3_GFX90A:ACCUM_OFFSET: 7
; COMPUTE_PGM_RSRC3_GFX90A:TG_SPLIT: 0
	.section	.text._ZN9rocsolver6v33100L23larf_right_kernel_smallILi1024EdiPKPdEEvT1_S5_T2_lS5_lPKT0_lS6_lS5_l,"axG",@progbits,_ZN9rocsolver6v33100L23larf_right_kernel_smallILi1024EdiPKPdEEvT1_S5_T2_lS5_lPKT0_lS6_lS5_l,comdat
	.globl	_ZN9rocsolver6v33100L23larf_right_kernel_smallILi1024EdiPKPdEEvT1_S5_T2_lS5_lPKT0_lS6_lS5_l ; -- Begin function _ZN9rocsolver6v33100L23larf_right_kernel_smallILi1024EdiPKPdEEvT1_S5_T2_lS5_lPKT0_lS6_lS5_l
	.p2align	8
	.type	_ZN9rocsolver6v33100L23larf_right_kernel_smallILi1024EdiPKPdEEvT1_S5_T2_lS5_lPKT0_lS6_lS5_l,@function
_ZN9rocsolver6v33100L23larf_right_kernel_smallILi1024EdiPKPdEEvT1_S5_T2_lS5_lPKT0_lS6_lS5_l: ; @_ZN9rocsolver6v33100L23larf_right_kernel_smallILi1024EdiPKPdEEvT1_S5_T2_lS5_lPKT0_lS6_lS5_l
; %bb.0:
	s_load_dwordx8 s[8:15], s[0:1], 0x28
	s_load_dwordx2 s[18:19], s[0:1], 0x0
	s_mov_b32 s16, s3
	s_ashr_i32 s3, s2, 31
	s_lshl_b64 s[20:21], s[2:3], 3
	s_waitcnt lgkmcnt(0)
	s_add_u32 s4, s12, s20
	s_addc_u32 s5, s13, s21
	s_load_dwordx2 s[4:5], s[4:5], 0x0
	v_cmp_gt_i32_e64 s[6:7], s19, v0
	v_lshlrev_b32_e32 v1, 3, v0
	s_and_saveexec_b64 s[12:13], s[6:7]
	s_cbranch_execz .LBB19_3
; %bb.1:
	s_load_dwordx4 s[24:27], s[0:1], 0x8
	s_load_dword s17, s[0:1], 0x18
	v_lshlrev_b32_e32 v4, 3, v0
	v_mov_b32_e32 v5, v0
	s_waitcnt lgkmcnt(0)
	s_add_u32 s20, s24, s20
	s_addc_u32 s21, s25, s21
	s_load_dwordx2 s[22:23], s[20:21], 0x0
	s_lshl_b64 s[24:25], s[26:27], 3
	v_mul_lo_u32 v2, v0, s17
	s_mov_b64 s[20:21], 0
	s_waitcnt lgkmcnt(0)
	s_add_u32 s22, s22, s24
	s_addc_u32 s23, s23, s25
	s_sub_i32 s24, 1, s19
	s_mul_i32 s24, s17, s24
	s_cmp_lt_i32 s17, 1
	s_cselect_b32 s24, s24, 0
	s_lshl_b32 s17, s17, 10
	v_add_u32_e32 v2, s24, v2
.LBB19_2:                               ; =>This Inner Loop Header: Depth=1
	v_ashrrev_i32_e32 v3, 31, v2
	v_lshl_add_u64 v[6:7], v[2:3], 3, s[22:23]
	flat_load_dwordx2 v[6:7], v[6:7]
	v_add_u32_e32 v5, 0x400, v5
	v_cmp_le_i32_e32 vcc, s19, v5
	v_add_u32_e32 v2, s17, v2
	s_or_b64 s[20:21], vcc, s[20:21]
	s_waitcnt vmcnt(0) lgkmcnt(0)
	ds_write_b64 v4, v[6:7]
	v_add_u32_e32 v4, 0x2000, v4
	s_andn2_b64 exec, exec, s[20:21]
	s_cbranch_execnz .LBB19_2
.LBB19_3:
	s_or_b64 exec, exec, s[12:13]
	s_cmp_ge_i32 s16, s18
	s_waitcnt lgkmcnt(0)
	s_barrier
	s_cbranch_scc1 .LBB19_23
; %bb.4:
	s_load_dword s12, s[0:1], 0x48
	s_lshl_b64 s[0:1], s[14:15], 3
	s_add_u32 s22, s4, s0
	s_addc_u32 s23, s5, s1
	s_mul_i32 s0, s10, s3
	s_mul_hi_u32 s1, s10, s2
	s_add_i32 s0, s1, s0
	s_mul_i32 s1, s11, s2
	s_add_i32 s1, s0, s1
	s_mul_i32 s0, s10, s2
	s_lshl_b64 s[0:1], s[0:1], 3
	s_add_u32 s0, s8, s0
	v_and_b32_e32 v2, 63, v0
	s_addc_u32 s1, s9, s1
	v_cmp_eq_u32_e64 s[2:3], 0, v2
	v_mbcnt_lo_u32_b32 v2, -1, 0
	s_cmp_gt_i32 s19, 1
	v_mbcnt_hi_u32_b32 v18, -1, v2
	v_mov_b32_e32 v2, 0x80
	s_cselect_b64 s[8:9], -1, 0
	v_lshrrev_b32_e32 v8, 3, v0
	v_cmp_eq_u32_e64 s[4:5], 0, v0
	s_waitcnt lgkmcnt(0)
	v_mul_lo_u32 v9, v0, s12
	s_lshl_b32 s24, s12, 10
	v_mov_b32_e32 v10, 0x4008
	v_mov_b32_e32 v11, 0x4018
	;; [unrolled: 1-line block ×8, first 2 shown]
	v_and_b32_e32 v19, 63, v18
	v_lshl_or_b32 v20, v18, 2, v2
	s_branch .LBB19_6
.LBB19_5:                               ;   in Loop: Header=BB19_6 Depth=1
	s_or_b64 exec, exec, s[12:13]
	s_add_i32 s16, s16, 64
	s_cmp_ge_i32 s16, s18
	s_cbranch_scc1 .LBB19_23
.LBB19_6:                               ; =>This Loop Header: Depth=1
                                        ;     Child Loop BB19_8 Depth 2
                                        ;     Child Loop BB19_22 Depth 2
	s_ashr_i32 s17, s16, 31
	s_lshl_b64 s[10:11], s[16:17], 3
	s_add_u32 s10, s22, s10
	s_addc_u32 s11, s23, s11
	v_mov_b64_e32 v[2:3], 0
	s_and_saveexec_b64 s[12:13], s[6:7]
	s_cbranch_execz .LBB19_10
; %bb.7:                                ;   in Loop: Header=BB19_6 Depth=1
	v_mov_b64_e32 v[2:3], 0
	s_mov_b64 s[14:15], 0
	v_mov_b32_e32 v4, v9
	v_mov_b32_e32 v6, v1
	;; [unrolled: 1-line block ×3, first 2 shown]
.LBB19_8:                               ;   Parent Loop BB19_6 Depth=1
                                        ; =>  This Inner Loop Header: Depth=2
	v_ashrrev_i32_e32 v5, 31, v4
	v_lshl_add_u64 v[22:23], v[4:5], 3, s[10:11]
	flat_load_dwordx2 v[22:23], v[22:23]
	ds_read_b64 v[24:25], v6
	v_add_u32_e32 v7, 0x400, v7
	v_cmp_le_i32_e32 vcc, s19, v7
	v_add_u32_e32 v6, 0x2000, v6
	v_add_u32_e32 v4, s24, v4
	s_or_b64 s[14:15], vcc, s[14:15]
	s_waitcnt vmcnt(0) lgkmcnt(0)
	v_fmac_f64_e32 v[2:3], v[24:25], v[22:23]
	s_andn2_b64 exec, exec, s[14:15]
	s_cbranch_execnz .LBB19_8
; %bb.9:                                ;   in Loop: Header=BB19_6 Depth=1
	s_or_b64 exec, exec, s[14:15]
.LBB19_10:                              ;   in Loop: Header=BB19_6 Depth=1
	s_or_b64 exec, exec, s[12:13]
	s_and_b64 vcc, exec, s[8:9]
	s_cbranch_vccz .LBB19_17
; %bb.11:                               ;   in Loop: Header=BB19_6 Depth=1
	v_cmp_ne_u32_e32 vcc, 63, v19
	s_nop 1
	v_addc_co_u32_e32 v4, vcc, 0, v18, vcc
	v_lshlrev_b32_e32 v5, 2, v4
	ds_bpermute_b32 v4, v5, v2
	ds_bpermute_b32 v5, v5, v3
	v_cmp_gt_u32_e32 vcc, 62, v19
	s_waitcnt lgkmcnt(0)
	v_add_f64 v[4:5], v[2:3], v[4:5]
	v_cndmask_b32_e64 v6, 0, 2, vcc
	v_add_lshl_u32 v7, v6, v18, 2
	ds_bpermute_b32 v6, v7, v4
	ds_bpermute_b32 v7, v7, v5
	v_cmp_gt_u32_e32 vcc, 60, v19
	s_waitcnt lgkmcnt(0)
	v_add_f64 v[4:5], v[4:5], v[6:7]
	v_cndmask_b32_e64 v6, 0, 4, vcc
	v_add_lshl_u32 v7, v6, v18, 2
	;; [unrolled: 7-line block ×4, first 2 shown]
	ds_bpermute_b32 v6, v7, v4
	ds_bpermute_b32 v7, v7, v5
	s_waitcnt lgkmcnt(0)
	v_add_f64 v[4:5], v[4:5], v[6:7]
	ds_bpermute_b32 v6, v20, v4
	ds_bpermute_b32 v7, v20, v5
	s_waitcnt lgkmcnt(0)
	v_add_f64 v[4:5], v[4:5], v[6:7]
	s_and_saveexec_b64 s[12:13], s[2:3]
; %bb.12:                               ;   in Loop: Header=BB19_6 Depth=1
	ds_write_b64 v8, v[4:5] offset:16384
; %bb.13:                               ;   in Loop: Header=BB19_6 Depth=1
	s_or_b64 exec, exec, s[12:13]
	s_mov_b64 s[14:15], 0
	s_mov_b64 s[12:13], 0
	s_waitcnt lgkmcnt(0)
	s_barrier
                                        ; implicit-def: $vgpr6_vgpr7
	s_and_saveexec_b64 s[20:21], s[4:5]
	s_xor_b64 s[20:21], exec, s[20:21]
	s_cbranch_execz .LBB19_15
; %bb.14:                               ;   in Loop: Header=BB19_6 Depth=1
	ds_read2_b64 v[22:25], v10 offset1:1
	ds_read2_b64 v[26:29], v11 offset1:1
	;; [unrolled: 1-line block ×4, first 2 shown]
	s_mov_b64 s[12:13], exec
	s_waitcnt lgkmcnt(0)
	v_add_f64 v[4:5], v[4:5], v[22:23]
	v_add_f64 v[4:5], v[4:5], v[24:25]
	s_waitcnt lgkmcnt(2)
	v_add_f64 v[4:5], v[4:5], v[26:27]
	v_add_f64 v[4:5], v[4:5], v[28:29]
	s_waitcnt lgkmcnt(1)
	v_add_f64 v[22:23], v[4:5], v[30:31]
	ds_read2_b64 v[4:7], v14 offset1:1
	v_add_f64 v[22:23], v[22:23], v[32:33]
	s_waitcnt lgkmcnt(1)
	v_add_f64 v[22:23], v[22:23], v[34:35]
	v_add_f64 v[26:27], v[22:23], v[36:37]
	ds_read2_b64 v[22:25], v15 offset1:1
	s_waitcnt lgkmcnt(0)
	v_add_f64 v[4:5], v[26:27], v[4:5]
	ds_read2_b64 v[26:29], v16 offset1:1
	v_add_f64 v[4:5], v[4:5], v[6:7]
	ds_read_b64 v[6:7], v17 offset:16504
	s_waitcnt lgkmcnt(2)
	v_add_f64 v[4:5], v[4:5], v[22:23]
	v_add_f64 v[4:5], v[4:5], v[24:25]
	s_waitcnt lgkmcnt(0)
	v_add_f64 v[4:5], v[4:5], v[26:27]
	v_add_f64 v[4:5], v[4:5], v[28:29]
	s_waitcnt lgkmcnt(0)
	v_add_f64 v[6:7], v[4:5], v[6:7]
.LBB19_15:                              ;   in Loop: Header=BB19_6 Depth=1
	s_or_b64 exec, exec, s[20:21]
	s_and_b64 vcc, exec, s[14:15]
	s_cbranch_vccnz .LBB19_18
.LBB19_16:                              ;   in Loop: Header=BB19_6 Depth=1
	v_mov_b64_e32 v[2:3], v[6:7]
	s_and_saveexec_b64 s[14:15], s[12:13]
	s_cbranch_execnz .LBB19_19
	s_branch .LBB19_20
.LBB19_17:                              ;   in Loop: Header=BB19_6 Depth=1
	s_mov_b64 s[12:13], 0
                                        ; implicit-def: $vgpr6_vgpr7
	s_cbranch_execz .LBB19_16
.LBB19_18:                              ;   in Loop: Header=BB19_6 Depth=1
	s_andn2_b64 s[12:13], s[12:13], exec
	s_and_b64 s[14:15], s[4:5], exec
	s_or_b64 s[12:13], s[12:13], s[14:15]
	s_and_saveexec_b64 s[14:15], s[12:13]
.LBB19_19:                              ;   in Loop: Header=BB19_6 Depth=1
	ds_write_b64 v17, v[2:3] offset:16384
.LBB19_20:                              ;   in Loop: Header=BB19_6 Depth=1
	s_or_b64 exec, exec, s[14:15]
	s_waitcnt lgkmcnt(0)
	s_barrier
	s_and_saveexec_b64 s[12:13], s[6:7]
	s_cbranch_execz .LBB19_5
; %bb.21:                               ;   in Loop: Header=BB19_6 Depth=1
	global_load_dwordx2 v[4:5], v17, s[0:1]
	ds_read_b64 v[22:23], v17 offset:16384
	s_mov_b64 s[14:15], 0
	v_mov_b32_e32 v6, v1
	v_mov_b32_e32 v2, v9
	;; [unrolled: 1-line block ×3, first 2 shown]
	s_waitcnt vmcnt(0) lgkmcnt(0)
	v_mul_f64 v[4:5], v[22:23], -v[4:5]
.LBB19_22:                              ;   Parent Loop BB19_6 Depth=1
                                        ; =>  This Inner Loop Header: Depth=2
	v_ashrrev_i32_e32 v3, 31, v2
	v_lshl_add_u64 v[22:23], v[2:3], 3, s[10:11]
	flat_load_dwordx2 v[24:25], v[22:23]
	ds_read_b64 v[26:27], v6
	v_add_u32_e32 v7, 0x400, v7
	v_cmp_le_i32_e32 vcc, s19, v7
	v_add_u32_e32 v6, 0x2000, v6
	v_add_u32_e32 v2, s24, v2
	s_or_b64 s[14:15], vcc, s[14:15]
	s_waitcnt vmcnt(0) lgkmcnt(0)
	v_fmac_f64_e32 v[24:25], v[4:5], v[26:27]
	flat_store_dwordx2 v[22:23], v[24:25]
	s_andn2_b64 exec, exec, s[14:15]
	s_cbranch_execnz .LBB19_22
	s_branch .LBB19_5
.LBB19_23:
	s_endpgm
	.section	.rodata,"a",@progbits
	.p2align	6, 0x0
	.amdhsa_kernel _ZN9rocsolver6v33100L23larf_right_kernel_smallILi1024EdiPKPdEEvT1_S5_T2_lS5_lPKT0_lS6_lS5_l
		.amdhsa_group_segment_fixed_size 16512
		.amdhsa_private_segment_fixed_size 0
		.amdhsa_kernarg_size 88
		.amdhsa_user_sgpr_count 2
		.amdhsa_user_sgpr_dispatch_ptr 0
		.amdhsa_user_sgpr_queue_ptr 0
		.amdhsa_user_sgpr_kernarg_segment_ptr 1
		.amdhsa_user_sgpr_dispatch_id 0
		.amdhsa_user_sgpr_kernarg_preload_length 0
		.amdhsa_user_sgpr_kernarg_preload_offset 0
		.amdhsa_user_sgpr_private_segment_size 0
		.amdhsa_uses_dynamic_stack 0
		.amdhsa_enable_private_segment 0
		.amdhsa_system_sgpr_workgroup_id_x 1
		.amdhsa_system_sgpr_workgroup_id_y 1
		.amdhsa_system_sgpr_workgroup_id_z 0
		.amdhsa_system_sgpr_workgroup_info 0
		.amdhsa_system_vgpr_workitem_id 0
		.amdhsa_next_free_vgpr 38
		.amdhsa_next_free_sgpr 28
		.amdhsa_accum_offset 40
		.amdhsa_reserve_vcc 1
		.amdhsa_float_round_mode_32 0
		.amdhsa_float_round_mode_16_64 0
		.amdhsa_float_denorm_mode_32 3
		.amdhsa_float_denorm_mode_16_64 3
		.amdhsa_dx10_clamp 1
		.amdhsa_ieee_mode 1
		.amdhsa_fp16_overflow 0
		.amdhsa_tg_split 0
		.amdhsa_exception_fp_ieee_invalid_op 0
		.amdhsa_exception_fp_denorm_src 0
		.amdhsa_exception_fp_ieee_div_zero 0
		.amdhsa_exception_fp_ieee_overflow 0
		.amdhsa_exception_fp_ieee_underflow 0
		.amdhsa_exception_fp_ieee_inexact 0
		.amdhsa_exception_int_div_zero 0
	.end_amdhsa_kernel
	.section	.text._ZN9rocsolver6v33100L23larf_right_kernel_smallILi1024EdiPKPdEEvT1_S5_T2_lS5_lPKT0_lS6_lS5_l,"axG",@progbits,_ZN9rocsolver6v33100L23larf_right_kernel_smallILi1024EdiPKPdEEvT1_S5_T2_lS5_lPKT0_lS6_lS5_l,comdat
.Lfunc_end19:
	.size	_ZN9rocsolver6v33100L23larf_right_kernel_smallILi1024EdiPKPdEEvT1_S5_T2_lS5_lPKT0_lS6_lS5_l, .Lfunc_end19-_ZN9rocsolver6v33100L23larf_right_kernel_smallILi1024EdiPKPdEEvT1_S5_T2_lS5_lPKT0_lS6_lS5_l
                                        ; -- End function
	.set _ZN9rocsolver6v33100L23larf_right_kernel_smallILi1024EdiPKPdEEvT1_S5_T2_lS5_lPKT0_lS6_lS5_l.num_vgpr, 38
	.set _ZN9rocsolver6v33100L23larf_right_kernel_smallILi1024EdiPKPdEEvT1_S5_T2_lS5_lPKT0_lS6_lS5_l.num_agpr, 0
	.set _ZN9rocsolver6v33100L23larf_right_kernel_smallILi1024EdiPKPdEEvT1_S5_T2_lS5_lPKT0_lS6_lS5_l.numbered_sgpr, 28
	.set _ZN9rocsolver6v33100L23larf_right_kernel_smallILi1024EdiPKPdEEvT1_S5_T2_lS5_lPKT0_lS6_lS5_l.num_named_barrier, 0
	.set _ZN9rocsolver6v33100L23larf_right_kernel_smallILi1024EdiPKPdEEvT1_S5_T2_lS5_lPKT0_lS6_lS5_l.private_seg_size, 0
	.set _ZN9rocsolver6v33100L23larf_right_kernel_smallILi1024EdiPKPdEEvT1_S5_T2_lS5_lPKT0_lS6_lS5_l.uses_vcc, 1
	.set _ZN9rocsolver6v33100L23larf_right_kernel_smallILi1024EdiPKPdEEvT1_S5_T2_lS5_lPKT0_lS6_lS5_l.uses_flat_scratch, 0
	.set _ZN9rocsolver6v33100L23larf_right_kernel_smallILi1024EdiPKPdEEvT1_S5_T2_lS5_lPKT0_lS6_lS5_l.has_dyn_sized_stack, 0
	.set _ZN9rocsolver6v33100L23larf_right_kernel_smallILi1024EdiPKPdEEvT1_S5_T2_lS5_lPKT0_lS6_lS5_l.has_recursion, 0
	.set _ZN9rocsolver6v33100L23larf_right_kernel_smallILi1024EdiPKPdEEvT1_S5_T2_lS5_lPKT0_lS6_lS5_l.has_indirect_call, 0
	.section	.AMDGPU.csdata,"",@progbits
; Kernel info:
; codeLenInByte = 1348
; TotalNumSgprs: 34
; NumVgprs: 38
; NumAgprs: 0
; TotalNumVgprs: 38
; ScratchSize: 0
; MemoryBound: 0
; FloatMode: 240
; IeeeMode: 1
; LDSByteSize: 16512 bytes/workgroup (compile time only)
; SGPRBlocks: 4
; VGPRBlocks: 4
; NumSGPRsForWavesPerEU: 34
; NumVGPRsForWavesPerEU: 38
; AccumOffset: 40
; Occupancy: 8
; WaveLimiterHint : 1
; COMPUTE_PGM_RSRC2:SCRATCH_EN: 0
; COMPUTE_PGM_RSRC2:USER_SGPR: 2
; COMPUTE_PGM_RSRC2:TRAP_HANDLER: 0
; COMPUTE_PGM_RSRC2:TGID_X_EN: 1
; COMPUTE_PGM_RSRC2:TGID_Y_EN: 1
; COMPUTE_PGM_RSRC2:TGID_Z_EN: 0
; COMPUTE_PGM_RSRC2:TIDIG_COMP_CNT: 0
; COMPUTE_PGM_RSRC3_GFX90A:ACCUM_OFFSET: 9
; COMPUTE_PGM_RSRC3_GFX90A:TG_SPLIT: 0
	.section	.text._ZN9rocsolver6v33100L22larf_left_kernel_smallILi64EdlPdEEvT1_S3_T2_lS3_lPKT0_lS4_lS3_l,"axG",@progbits,_ZN9rocsolver6v33100L22larf_left_kernel_smallILi64EdlPdEEvT1_S3_T2_lS3_lPKT0_lS4_lS3_l,comdat
	.globl	_ZN9rocsolver6v33100L22larf_left_kernel_smallILi64EdlPdEEvT1_S3_T2_lS3_lPKT0_lS4_lS3_l ; -- Begin function _ZN9rocsolver6v33100L22larf_left_kernel_smallILi64EdlPdEEvT1_S3_T2_lS3_lPKT0_lS4_lS3_l
	.p2align	8
	.type	_ZN9rocsolver6v33100L22larf_left_kernel_smallILi64EdlPdEEvT1_S3_T2_lS3_lPKT0_lS4_lS3_l,@function
_ZN9rocsolver6v33100L22larf_left_kernel_smallILi64EdlPdEEvT1_S3_T2_lS3_lPKT0_lS4_lS3_l: ; @_ZN9rocsolver6v33100L22larf_left_kernel_smallILi64EdlPdEEvT1_S3_T2_lS3_lPKT0_lS4_lS3_l
; %bb.0:
	s_load_dwordx16 s[8:23], s[0:1], 0x0
	s_mov_b32 s6, s3
	s_mov_b64 s[26:27], 0
	s_waitcnt lgkmcnt(0)
	v_cmp_gt_i64_e64 s[4:5], s[16:17], 0
	s_and_b64 vcc, exec, s[4:5]
	s_cbranch_vccnz .LBB20_2
; %bb.1:
	s_sub_u32 s3, 1, s8
	s_subb_u32 s4, 0, s9
	s_mul_i32 s4, s16, s4
	s_mul_hi_u32 s5, s16, s3
	s_add_i32 s4, s5, s4
	s_mul_i32 s5, s17, s3
	s_add_i32 s27, s4, s5
	s_mul_i32 s26, s16, s3
.LBB20_2:
	v_mov_b32_e32 v1, 0
	v_cmp_gt_i64_e64 s[4:5], s[8:9], v[0:1]
	v_lshlrev_b32_e32 v14, 3, v0
	s_and_saveexec_b64 s[24:25], s[4:5]
	s_cbranch_execz .LBB20_5
; %bb.3:
	s_mul_i32 s3, s19, s2
	s_mul_hi_u32 s7, s18, s2
	s_add_i32 s19, s7, s3
	s_mul_i32 s18, s18, s2
	s_lshl_b64 s[18:19], s[18:19], 3
	s_lshl_b64 s[26:27], s[26:27], 3
	;; [unrolled: 1-line block ×3, first 2 shown]
	s_add_u32 s3, s12, s14
	s_addc_u32 s7, s13, s15
	v_mad_u64_u32 v[2:3], s[28:29], s16, v0, 0
	s_add_u32 s3, s3, s26
	v_mov_b32_e32 v4, v3
	s_addc_u32 s7, s7, s27
	v_mad_u64_u32 v[4:5], s[28:29], s17, v0, v[4:5]
	s_add_u32 s12, s3, s18
	v_mov_b32_e32 v3, v4
	s_addc_u32 s13, s7, s19
	v_lshl_add_u64 v[2:3], v[2:3], 3, s[12:13]
	s_lshl_b64 s[12:13], s[16:17], 9
	v_lshlrev_b32_e32 v6, 3, v0
	s_mov_b64 s[14:15], 0
	v_mov_b64_e32 v[4:5], v[0:1]
.LBB20_4:                               ; =>This Inner Loop Header: Depth=1
	global_load_dwordx2 v[8:9], v[2:3], off
	v_lshl_add_u64 v[4:5], v[4:5], 0, 64
	v_cmp_le_i64_e32 vcc, s[8:9], v[4:5]
	v_lshl_add_u64 v[2:3], v[2:3], 0, s[12:13]
	s_or_b64 s[14:15], vcc, s[14:15]
	s_waitcnt vmcnt(0)
	ds_write_b64 v6, v[8:9]
	v_add_u32_e32 v6, 0x200, v6
	s_andn2_b64 exec, exec, s[14:15]
	s_cbranch_execnz .LBB20_4
.LBB20_5:
	s_or_b64 exec, exec, s[24:25]
	s_mov_b32 s7, 0
	v_mov_b64_e32 v[2:3], s[6:7]
	v_cmp_le_i64_e32 vcc, s[10:11], v[2:3]
	s_waitcnt lgkmcnt(0)
	; wave barrier
	s_cbranch_vccnz .LBB20_23
; %bb.6:
	s_load_dwordx8 s[12:19], s[0:1], 0x40
	s_mul_i32 s0, s23, s2
	s_mul_hi_u32 s1, s22, s2
	s_add_i32 s1, s1, s0
	s_mul_i32 s0, s22, s2
	s_lshl_b64 s[0:1], s[0:1], 3
	s_add_u32 s20, s20, s0
	s_addc_u32 s21, s21, s1
	s_cmp_gt_i32 s8, 1
	s_waitcnt lgkmcnt(0)
	s_mul_i32 s3, s19, s2
	s_mul_hi_u32 s19, s18, s2
	s_cselect_b64 s[22:23], -1, 0
	s_add_i32 s3, s19, s3
	s_mul_i32 s2, s18, s2
	s_mul_i32 s18, s17, s6
	s_mul_hi_u32 s19, s16, s6
	s_add_i32 s19, s19, s18
	s_mul_i32 s18, s16, s6
	s_lshl_b64 s[2:3], s[2:3], 3
	s_lshl_b64 s[18:19], s[18:19], 3
	s_add_u32 s18, s2, s18
	s_addc_u32 s19, s3, s19
	s_lshl_b64 s[2:3], s[14:15], 3
	s_add_u32 s2, s18, s2
	s_addc_u32 s3, s19, s3
	s_add_u32 s2, s12, s2
	v_lshlrev_b32_e32 v2, 3, v0
	v_mov_b32_e32 v3, 0
	s_addc_u32 s3, s13, s3
	v_lshl_add_u64 v[4:5], s[2:3], 0, v[2:3]
	v_mbcnt_lo_u32_b32 v2, -1, 0
	v_mbcnt_hi_u32_b32 v2, -1, v2
	v_mov_b32_e32 v8, 0x80
	v_cmp_gt_i32_e64 s[0:1], s8, v0
	v_cmp_eq_u32_e64 s[24:25], 0, v0
	v_lshrrev_b32_e32 v15, 3, v0
	s_lshl_b64 s[2:3], s[16:17], 9
	s_mov_b64 s[12:13], 0x200
	v_mov_b64_e32 v[6:7], s[10:11]
	v_and_b32_e32 v16, 63, v2
	v_lshl_or_b32 v17, v2, 2, v8
	s_branch .LBB20_8
.LBB20_7:                               ;   in Loop: Header=BB20_8 Depth=1
	s_or_b64 exec, exec, s[10:11]
	s_add_u32 s6, s6, 64
	s_addc_u32 s7, s7, 0
	v_cmp_ge_i64_e32 vcc, s[6:7], v[6:7]
	v_lshl_add_u64 v[4:5], v[4:5], 0, s[2:3]
	s_cbranch_vccnz .LBB20_23
.LBB20_8:                               ; =>This Loop Header: Depth=1
                                        ;     Child Loop BB20_10 Depth 2
                                        ;     Child Loop BB20_22 Depth 2
	v_mov_b64_e32 v[8:9], 0
	s_and_saveexec_b64 s[10:11], s[0:1]
	s_cbranch_execz .LBB20_12
; %bb.9:                                ;   in Loop: Header=BB20_8 Depth=1
	v_mov_b64_e32 v[8:9], 0
	s_mov_b64 s[14:15], 0
	v_mov_b64_e32 v[10:11], v[4:5]
	v_mov_b32_e32 v12, v14
	v_mov_b32_e32 v13, v0
.LBB20_10:                              ;   Parent Loop BB20_8 Depth=1
                                        ; =>  This Inner Loop Header: Depth=2
	global_load_dwordx2 v[18:19], v[10:11], off
	ds_read_b64 v[20:21], v12
	v_add_u32_e32 v13, 64, v13
	v_cmp_le_i32_e32 vcc, s8, v13
	v_add_u32_e32 v12, 0x200, v12
	v_lshl_add_u64 v[10:11], v[10:11], 0, s[12:13]
	s_or_b64 s[14:15], vcc, s[14:15]
	s_waitcnt vmcnt(0) lgkmcnt(0)
	v_fmac_f64_e32 v[8:9], v[20:21], v[18:19]
	s_andn2_b64 exec, exec, s[14:15]
	s_cbranch_execnz .LBB20_10
; %bb.11:                               ;   in Loop: Header=BB20_8 Depth=1
	s_or_b64 exec, exec, s[14:15]
.LBB20_12:                              ;   in Loop: Header=BB20_8 Depth=1
	s_or_b64 exec, exec, s[10:11]
	s_and_b64 vcc, exec, s[22:23]
	s_cbranch_vccz .LBB20_17
; %bb.13:                               ;   in Loop: Header=BB20_8 Depth=1
	v_cmp_ne_u32_e32 vcc, 63, v16
	s_nop 1
	v_addc_co_u32_e32 v10, vcc, 0, v2, vcc
	v_lshlrev_b32_e32 v11, 2, v10
	ds_bpermute_b32 v10, v11, v8
	ds_bpermute_b32 v11, v11, v9
	v_cmp_gt_u32_e32 vcc, 62, v16
	s_waitcnt lgkmcnt(0)
	v_add_f64 v[10:11], v[8:9], v[10:11]
	v_cndmask_b32_e64 v12, 0, 2, vcc
	v_add_lshl_u32 v13, v12, v2, 2
	ds_bpermute_b32 v12, v13, v10
	ds_bpermute_b32 v13, v13, v11
	v_cmp_gt_u32_e32 vcc, 60, v16
	s_waitcnt lgkmcnt(0)
	v_add_f64 v[10:11], v[10:11], v[12:13]
	v_cndmask_b32_e64 v12, 0, 4, vcc
	v_add_lshl_u32 v13, v12, v2, 2
	;; [unrolled: 7-line block ×4, first 2 shown]
	ds_bpermute_b32 v12, v13, v10
	ds_bpermute_b32 v13, v13, v11
	s_waitcnt lgkmcnt(0)
	v_add_f64 v[10:11], v[10:11], v[12:13]
	ds_bpermute_b32 v12, v17, v10
	ds_bpermute_b32 v13, v17, v11
	s_waitcnt lgkmcnt(0)
	v_add_f64 v[10:11], v[10:11], v[12:13]
	s_and_saveexec_b64 s[10:11], s[24:25]
; %bb.14:                               ;   in Loop: Header=BB20_8 Depth=1
	ds_write_b64 v15, v[10:11] offset:16384
; %bb.15:                               ;   in Loop: Header=BB20_8 Depth=1
	s_or_b64 exec, exec, s[10:11]
	s_waitcnt lgkmcnt(0)
	; wave barrier
	s_mov_b64 s[10:11], s[24:25]
.LBB20_16:                              ;   in Loop: Header=BB20_8 Depth=1
	v_mov_b64_e32 v[8:9], v[10:11]
	s_and_saveexec_b64 s[14:15], s[10:11]
	s_cbranch_execnz .LBB20_19
	s_branch .LBB20_20
.LBB20_17:                              ;   in Loop: Header=BB20_8 Depth=1
	s_mov_b64 s[10:11], 0
                                        ; implicit-def: $vgpr10_vgpr11
	s_cbranch_execz .LBB20_16
; %bb.18:                               ;   in Loop: Header=BB20_8 Depth=1
	s_andn2_b64 s[10:11], s[10:11], exec
	s_and_b64 s[14:15], s[24:25], exec
	s_or_b64 s[10:11], s[10:11], s[14:15]
	s_and_saveexec_b64 s[14:15], s[10:11]
.LBB20_19:                              ;   in Loop: Header=BB20_8 Depth=1
	ds_write_b64 v3, v[8:9] offset:16384
.LBB20_20:                              ;   in Loop: Header=BB20_8 Depth=1
	s_or_b64 exec, exec, s[14:15]
	s_waitcnt lgkmcnt(0)
	; wave barrier
	s_and_saveexec_b64 s[10:11], s[4:5]
	s_cbranch_execz .LBB20_7
; %bb.21:                               ;   in Loop: Header=BB20_8 Depth=1
	global_load_dwordx2 v[10:11], v3, s[20:21]
	ds_read_b64 v[12:13], v3 offset:16384
	s_mov_b64 s[14:15], 0
	v_mov_b64_e32 v[8:9], v[4:5]
	v_mov_b32_e32 v18, v14
	s_waitcnt vmcnt(0) lgkmcnt(0)
	v_mul_f64 v[10:11], v[12:13], -v[10:11]
	v_mov_b64_e32 v[12:13], v[0:1]
.LBB20_22:                              ;   Parent Loop BB20_8 Depth=1
                                        ; =>  This Inner Loop Header: Depth=2
	global_load_dwordx2 v[20:21], v[8:9], off
	ds_read_b64 v[22:23], v18
	v_lshl_add_u64 v[12:13], v[12:13], 0, 64
	v_cmp_le_i64_e32 vcc, s[8:9], v[12:13]
	v_add_u32_e32 v18, 0x200, v18
	s_or_b64 s[14:15], vcc, s[14:15]
	s_waitcnt vmcnt(0) lgkmcnt(0)
	v_fmac_f64_e32 v[20:21], v[10:11], v[22:23]
	global_store_dwordx2 v[8:9], v[20:21], off
	v_lshl_add_u64 v[8:9], v[8:9], 0, s[12:13]
	s_andn2_b64 exec, exec, s[14:15]
	s_cbranch_execnz .LBB20_22
	s_branch .LBB20_7
.LBB20_23:
	s_endpgm
	.section	.rodata,"a",@progbits
	.p2align	6, 0x0
	.amdhsa_kernel _ZN9rocsolver6v33100L22larf_left_kernel_smallILi64EdlPdEEvT1_S3_T2_lS3_lPKT0_lS4_lS3_l
		.amdhsa_group_segment_fixed_size 16896
		.amdhsa_private_segment_fixed_size 0
		.amdhsa_kernarg_size 96
		.amdhsa_user_sgpr_count 2
		.amdhsa_user_sgpr_dispatch_ptr 0
		.amdhsa_user_sgpr_queue_ptr 0
		.amdhsa_user_sgpr_kernarg_segment_ptr 1
		.amdhsa_user_sgpr_dispatch_id 0
		.amdhsa_user_sgpr_kernarg_preload_length 0
		.amdhsa_user_sgpr_kernarg_preload_offset 0
		.amdhsa_user_sgpr_private_segment_size 0
		.amdhsa_uses_dynamic_stack 0
		.amdhsa_enable_private_segment 0
		.amdhsa_system_sgpr_workgroup_id_x 1
		.amdhsa_system_sgpr_workgroup_id_y 1
		.amdhsa_system_sgpr_workgroup_id_z 0
		.amdhsa_system_sgpr_workgroup_info 0
		.amdhsa_system_vgpr_workitem_id 0
		.amdhsa_next_free_vgpr 129
		.amdhsa_next_free_sgpr 96
		.amdhsa_accum_offset 24
		.amdhsa_reserve_vcc 1
		.amdhsa_float_round_mode_32 0
		.amdhsa_float_round_mode_16_64 0
		.amdhsa_float_denorm_mode_32 3
		.amdhsa_float_denorm_mode_16_64 3
		.amdhsa_dx10_clamp 1
		.amdhsa_ieee_mode 1
		.amdhsa_fp16_overflow 0
		.amdhsa_tg_split 0
		.amdhsa_exception_fp_ieee_invalid_op 0
		.amdhsa_exception_fp_denorm_src 0
		.amdhsa_exception_fp_ieee_div_zero 0
		.amdhsa_exception_fp_ieee_overflow 0
		.amdhsa_exception_fp_ieee_underflow 0
		.amdhsa_exception_fp_ieee_inexact 0
		.amdhsa_exception_int_div_zero 0
	.end_amdhsa_kernel
	.section	.text._ZN9rocsolver6v33100L22larf_left_kernel_smallILi64EdlPdEEvT1_S3_T2_lS3_lPKT0_lS4_lS3_l,"axG",@progbits,_ZN9rocsolver6v33100L22larf_left_kernel_smallILi64EdlPdEEvT1_S3_T2_lS3_lPKT0_lS4_lS3_l,comdat
.Lfunc_end20:
	.size	_ZN9rocsolver6v33100L22larf_left_kernel_smallILi64EdlPdEEvT1_S3_T2_lS3_lPKT0_lS4_lS3_l, .Lfunc_end20-_ZN9rocsolver6v33100L22larf_left_kernel_smallILi64EdlPdEEvT1_S3_T2_lS3_lPKT0_lS4_lS3_l
                                        ; -- End function
	.set _ZN9rocsolver6v33100L22larf_left_kernel_smallILi64EdlPdEEvT1_S3_T2_lS3_lPKT0_lS4_lS3_l.num_vgpr, 24
	.set _ZN9rocsolver6v33100L22larf_left_kernel_smallILi64EdlPdEEvT1_S3_T2_lS3_lPKT0_lS4_lS3_l.num_agpr, 0
	.set _ZN9rocsolver6v33100L22larf_left_kernel_smallILi64EdlPdEEvT1_S3_T2_lS3_lPKT0_lS4_lS3_l.numbered_sgpr, 30
	.set _ZN9rocsolver6v33100L22larf_left_kernel_smallILi64EdlPdEEvT1_S3_T2_lS3_lPKT0_lS4_lS3_l.num_named_barrier, 0
	.set _ZN9rocsolver6v33100L22larf_left_kernel_smallILi64EdlPdEEvT1_S3_T2_lS3_lPKT0_lS4_lS3_l.private_seg_size, 0
	.set _ZN9rocsolver6v33100L22larf_left_kernel_smallILi64EdlPdEEvT1_S3_T2_lS3_lPKT0_lS4_lS3_l.uses_vcc, 1
	.set _ZN9rocsolver6v33100L22larf_left_kernel_smallILi64EdlPdEEvT1_S3_T2_lS3_lPKT0_lS4_lS3_l.uses_flat_scratch, 0
	.set _ZN9rocsolver6v33100L22larf_left_kernel_smallILi64EdlPdEEvT1_S3_T2_lS3_lPKT0_lS4_lS3_l.has_dyn_sized_stack, 0
	.set _ZN9rocsolver6v33100L22larf_left_kernel_smallILi64EdlPdEEvT1_S3_T2_lS3_lPKT0_lS4_lS3_l.has_recursion, 0
	.set _ZN9rocsolver6v33100L22larf_left_kernel_smallILi64EdlPdEEvT1_S3_T2_lS3_lPKT0_lS4_lS3_l.has_indirect_call, 0
	.section	.AMDGPU.csdata,"",@progbits
; Kernel info:
; codeLenInByte = 1096
; TotalNumSgprs: 36
; NumVgprs: 24
; NumAgprs: 0
; TotalNumVgprs: 24
; ScratchSize: 0
; MemoryBound: 0
; FloatMode: 240
; IeeeMode: 1
; LDSByteSize: 16896 bytes/workgroup (compile time only)
; SGPRBlocks: 12
; VGPRBlocks: 16
; NumSGPRsForWavesPerEU: 102
; NumVGPRsForWavesPerEU: 129
; AccumOffset: 24
; Occupancy: 3
; WaveLimiterHint : 0
; COMPUTE_PGM_RSRC2:SCRATCH_EN: 0
; COMPUTE_PGM_RSRC2:USER_SGPR: 2
; COMPUTE_PGM_RSRC2:TRAP_HANDLER: 0
; COMPUTE_PGM_RSRC2:TGID_X_EN: 1
; COMPUTE_PGM_RSRC2:TGID_Y_EN: 1
; COMPUTE_PGM_RSRC2:TGID_Z_EN: 0
; COMPUTE_PGM_RSRC2:TIDIG_COMP_CNT: 0
; COMPUTE_PGM_RSRC3_GFX90A:ACCUM_OFFSET: 5
; COMPUTE_PGM_RSRC3_GFX90A:TG_SPLIT: 0
	.section	.text._ZN9rocsolver6v33100L22larf_left_kernel_smallILi128EdlPdEEvT1_S3_T2_lS3_lPKT0_lS4_lS3_l,"axG",@progbits,_ZN9rocsolver6v33100L22larf_left_kernel_smallILi128EdlPdEEvT1_S3_T2_lS3_lPKT0_lS4_lS3_l,comdat
	.globl	_ZN9rocsolver6v33100L22larf_left_kernel_smallILi128EdlPdEEvT1_S3_T2_lS3_lPKT0_lS4_lS3_l ; -- Begin function _ZN9rocsolver6v33100L22larf_left_kernel_smallILi128EdlPdEEvT1_S3_T2_lS3_lPKT0_lS4_lS3_l
	.p2align	8
	.type	_ZN9rocsolver6v33100L22larf_left_kernel_smallILi128EdlPdEEvT1_S3_T2_lS3_lPKT0_lS4_lS3_l,@function
_ZN9rocsolver6v33100L22larf_left_kernel_smallILi128EdlPdEEvT1_S3_T2_lS3_lPKT0_lS4_lS3_l: ; @_ZN9rocsolver6v33100L22larf_left_kernel_smallILi128EdlPdEEvT1_S3_T2_lS3_lPKT0_lS4_lS3_l
; %bb.0:
	s_load_dwordx16 s[12:27], s[0:1], 0x0
	s_mov_b32 s10, s3
	s_mov_b64 s[6:7], 0
	s_waitcnt lgkmcnt(0)
	v_cmp_gt_i64_e64 s[4:5], s[20:21], 0
	s_and_b64 vcc, exec, s[4:5]
	s_cbranch_vccnz .LBB21_2
; %bb.1:
	s_sub_u32 s3, 1, s12
	s_subb_u32 s4, 0, s13
	s_mul_i32 s4, s20, s4
	s_mul_hi_u32 s5, s20, s3
	s_add_i32 s4, s5, s4
	s_mul_i32 s5, s21, s3
	s_add_i32 s7, s4, s5
	s_mul_i32 s6, s20, s3
.LBB21_2:
	v_mov_b32_e32 v1, 0
	v_cmp_gt_i64_e64 s[8:9], s[12:13], v[0:1]
	v_lshlrev_b32_e32 v14, 3, v0
	s_and_saveexec_b64 s[4:5], s[8:9]
	s_cbranch_execz .LBB21_5
; %bb.3:
	s_mul_i32 s3, s23, s2
	s_mul_hi_u32 s11, s22, s2
	s_add_i32 s23, s11, s3
	s_mul_i32 s22, s22, s2
	s_lshl_b64 s[22:23], s[22:23], 3
	s_lshl_b64 s[6:7], s[6:7], 3
	;; [unrolled: 1-line block ×3, first 2 shown]
	s_add_u32 s3, s16, s18
	s_addc_u32 s11, s17, s19
	v_mad_u64_u32 v[2:3], s[28:29], s20, v0, 0
	s_add_u32 s3, s3, s6
	v_mov_b32_e32 v4, v3
	s_addc_u32 s7, s11, s7
	v_mad_u64_u32 v[4:5], s[28:29], s21, v0, v[4:5]
	s_add_u32 s6, s3, s22
	v_mov_b32_e32 v3, v4
	s_addc_u32 s7, s7, s23
	v_lshl_add_u64 v[2:3], v[2:3], 3, s[6:7]
	s_lshl_b64 s[6:7], s[20:21], 10
	v_lshlrev_b32_e32 v6, 3, v0
	s_mov_b64 s[16:17], 0
	s_mov_b64 s[18:19], 0x80
	v_mov_b64_e32 v[4:5], v[0:1]
.LBB21_4:                               ; =>This Inner Loop Header: Depth=1
	global_load_dwordx2 v[8:9], v[2:3], off
	v_lshl_add_u64 v[4:5], v[4:5], 0, s[18:19]
	v_cmp_le_i64_e32 vcc, s[12:13], v[4:5]
	v_lshl_add_u64 v[2:3], v[2:3], 0, s[6:7]
	s_or_b64 s[16:17], vcc, s[16:17]
	s_waitcnt vmcnt(0)
	ds_write_b64 v6, v[8:9]
	v_add_u32_e32 v6, 0x400, v6
	s_andn2_b64 exec, exec, s[16:17]
	s_cbranch_execnz .LBB21_4
.LBB21_5:
	s_or_b64 exec, exec, s[4:5]
	s_mov_b32 s11, 0
	v_mov_b64_e32 v[2:3], s[10:11]
	v_cmp_le_i64_e32 vcc, s[14:15], v[2:3]
	s_waitcnt lgkmcnt(0)
	s_barrier
	s_cbranch_vccnz .LBB21_25
; %bb.6:
	s_load_dwordx8 s[16:23], s[0:1], 0x40
	s_mul_i32 s0, s27, s2
	s_mul_hi_u32 s1, s26, s2
	s_add_i32 s1, s1, s0
	s_mul_i32 s0, s26, s2
	s_lshl_b64 s[0:1], s[0:1], 3
	s_add_u32 s24, s24, s0
	s_addc_u32 s25, s25, s1
	s_cmp_gt_i32 s12, 1
	s_waitcnt lgkmcnt(0)
	s_mul_i32 s3, s23, s2
	s_mul_hi_u32 s23, s22, s2
	s_cselect_b64 s[26:27], -1, 0
	s_add_i32 s3, s23, s3
	s_mul_i32 s2, s22, s2
	s_mul_i32 s22, s21, s10
	s_mul_hi_u32 s23, s20, s10
	s_add_i32 s23, s23, s22
	s_mul_i32 s22, s20, s10
	s_lshl_b64 s[2:3], s[2:3], 3
	s_lshl_b64 s[22:23], s[22:23], 3
	s_add_u32 s22, s2, s22
	s_addc_u32 s23, s3, s23
	s_lshl_b64 s[2:3], s[18:19], 3
	s_add_u32 s2, s22, s2
	s_addc_u32 s3, s23, s3
	v_and_b32_e32 v2, 63, v0
	s_add_u32 s2, s16, s2
	v_cmp_eq_u32_e64 s[4:5], 0, v2
	v_lshlrev_b32_e32 v2, 3, v0
	v_mov_b32_e32 v3, 0
	s_addc_u32 s3, s17, s3
	v_lshl_add_u64 v[4:5], s[2:3], 0, v[2:3]
	v_mbcnt_lo_u32_b32 v2, -1, 0
	v_mbcnt_hi_u32_b32 v2, -1, v2
	v_mov_b32_e32 v8, 0x80
	v_cmp_gt_i32_e64 s[0:1], s12, v0
	v_lshrrev_b32_e32 v15, 3, v0
	v_cmp_eq_u32_e64 s[6:7], 0, v0
	s_lshl_b64 s[2:3], s[20:21], 9
	s_mov_b64 s[16:17], 0x400
	s_mov_b64 s[18:19], 0x80
	v_mov_b64_e32 v[6:7], s[14:15]
	v_and_b32_e32 v16, 63, v2
	v_lshl_or_b32 v17, v2, 2, v8
	s_branch .LBB21_8
.LBB21_7:                               ;   in Loop: Header=BB21_8 Depth=1
	s_or_b64 exec, exec, s[14:15]
	s_add_u32 s10, s10, 64
	s_addc_u32 s11, s11, 0
	v_cmp_ge_i64_e32 vcc, s[10:11], v[6:7]
	v_lshl_add_u64 v[4:5], v[4:5], 0, s[2:3]
	s_cbranch_vccnz .LBB21_25
.LBB21_8:                               ; =>This Loop Header: Depth=1
                                        ;     Child Loop BB21_10 Depth 2
                                        ;     Child Loop BB21_24 Depth 2
	v_mov_b64_e32 v[8:9], 0
	s_and_saveexec_b64 s[14:15], s[0:1]
	s_cbranch_execz .LBB21_12
; %bb.9:                                ;   in Loop: Header=BB21_8 Depth=1
	v_mov_b64_e32 v[8:9], 0
	s_mov_b64 s[20:21], 0
	v_mov_b64_e32 v[10:11], v[4:5]
	v_mov_b32_e32 v12, v14
	v_mov_b32_e32 v13, v0
.LBB21_10:                              ;   Parent Loop BB21_8 Depth=1
                                        ; =>  This Inner Loop Header: Depth=2
	global_load_dwordx2 v[18:19], v[10:11], off
	ds_read_b64 v[20:21], v12
	v_add_u32_e32 v13, 0x80, v13
	v_cmp_le_i32_e32 vcc, s12, v13
	v_add_u32_e32 v12, 0x400, v12
	v_lshl_add_u64 v[10:11], v[10:11], 0, s[16:17]
	s_or_b64 s[20:21], vcc, s[20:21]
	s_waitcnt vmcnt(0) lgkmcnt(0)
	v_fmac_f64_e32 v[8:9], v[20:21], v[18:19]
	s_andn2_b64 exec, exec, s[20:21]
	s_cbranch_execnz .LBB21_10
; %bb.11:                               ;   in Loop: Header=BB21_8 Depth=1
	s_or_b64 exec, exec, s[20:21]
.LBB21_12:                              ;   in Loop: Header=BB21_8 Depth=1
	s_or_b64 exec, exec, s[14:15]
	s_and_b64 vcc, exec, s[26:27]
	s_cbranch_vccz .LBB21_19
; %bb.13:                               ;   in Loop: Header=BB21_8 Depth=1
	v_cmp_ne_u32_e32 vcc, 63, v16
	s_nop 1
	v_addc_co_u32_e32 v10, vcc, 0, v2, vcc
	v_lshlrev_b32_e32 v11, 2, v10
	ds_bpermute_b32 v10, v11, v8
	ds_bpermute_b32 v11, v11, v9
	v_cmp_gt_u32_e32 vcc, 62, v16
	s_waitcnt lgkmcnt(0)
	v_add_f64 v[10:11], v[8:9], v[10:11]
	v_cndmask_b32_e64 v12, 0, 2, vcc
	v_add_lshl_u32 v13, v12, v2, 2
	ds_bpermute_b32 v12, v13, v10
	ds_bpermute_b32 v13, v13, v11
	v_cmp_gt_u32_e32 vcc, 60, v16
	s_waitcnt lgkmcnt(0)
	v_add_f64 v[10:11], v[10:11], v[12:13]
	v_cndmask_b32_e64 v12, 0, 4, vcc
	v_add_lshl_u32 v13, v12, v2, 2
	;; [unrolled: 7-line block ×4, first 2 shown]
	ds_bpermute_b32 v12, v13, v10
	ds_bpermute_b32 v13, v13, v11
	s_waitcnt lgkmcnt(0)
	v_add_f64 v[10:11], v[10:11], v[12:13]
	ds_bpermute_b32 v12, v17, v10
	ds_bpermute_b32 v13, v17, v11
	s_waitcnt lgkmcnt(0)
	v_add_f64 v[12:13], v[10:11], v[12:13]
	s_and_saveexec_b64 s[14:15], s[4:5]
; %bb.14:                               ;   in Loop: Header=BB21_8 Depth=1
	ds_write_b64 v15, v[12:13] offset:16384
; %bb.15:                               ;   in Loop: Header=BB21_8 Depth=1
	s_or_b64 exec, exec, s[14:15]
	s_mov_b64 s[20:21], 0
	s_mov_b64 s[14:15], 0
	s_waitcnt lgkmcnt(0)
	s_barrier
                                        ; implicit-def: $vgpr10_vgpr11
	s_and_saveexec_b64 s[22:23], s[6:7]
	s_xor_b64 s[22:23], exec, s[22:23]
	s_cbranch_execz .LBB21_17
; %bb.16:                               ;   in Loop: Header=BB21_8 Depth=1
	ds_read_b64 v[10:11], v3 offset:16392
	s_mov_b64 s[14:15], exec
	s_waitcnt lgkmcnt(0)
	v_add_f64 v[10:11], v[12:13], v[10:11]
.LBB21_17:                              ;   in Loop: Header=BB21_8 Depth=1
	s_or_b64 exec, exec, s[22:23]
	s_and_b64 vcc, exec, s[20:21]
	s_cbranch_vccnz .LBB21_20
.LBB21_18:                              ;   in Loop: Header=BB21_8 Depth=1
	v_mov_b64_e32 v[8:9], v[10:11]
	s_and_saveexec_b64 s[20:21], s[14:15]
	s_cbranch_execnz .LBB21_21
	s_branch .LBB21_22
.LBB21_19:                              ;   in Loop: Header=BB21_8 Depth=1
	s_mov_b64 s[14:15], 0
                                        ; implicit-def: $vgpr10_vgpr11
	s_cbranch_execz .LBB21_18
.LBB21_20:                              ;   in Loop: Header=BB21_8 Depth=1
	s_andn2_b64 s[14:15], s[14:15], exec
	s_and_b64 s[20:21], s[6:7], exec
	s_or_b64 s[14:15], s[14:15], s[20:21]
	s_and_saveexec_b64 s[20:21], s[14:15]
.LBB21_21:                              ;   in Loop: Header=BB21_8 Depth=1
	ds_write_b64 v3, v[8:9] offset:16384
.LBB21_22:                              ;   in Loop: Header=BB21_8 Depth=1
	s_or_b64 exec, exec, s[20:21]
	s_waitcnt lgkmcnt(0)
	s_barrier
	s_and_saveexec_b64 s[14:15], s[8:9]
	s_cbranch_execz .LBB21_7
; %bb.23:                               ;   in Loop: Header=BB21_8 Depth=1
	global_load_dwordx2 v[10:11], v3, s[24:25]
	ds_read_b64 v[12:13], v3 offset:16384
	s_mov_b64 s[20:21], 0
	v_mov_b64_e32 v[8:9], v[4:5]
	v_mov_b32_e32 v18, v14
	s_waitcnt vmcnt(0) lgkmcnt(0)
	v_mul_f64 v[10:11], v[12:13], -v[10:11]
	v_mov_b64_e32 v[12:13], v[0:1]
.LBB21_24:                              ;   Parent Loop BB21_8 Depth=1
                                        ; =>  This Inner Loop Header: Depth=2
	global_load_dwordx2 v[20:21], v[8:9], off
	ds_read_b64 v[22:23], v18
	v_lshl_add_u64 v[12:13], v[12:13], 0, s[18:19]
	v_cmp_le_i64_e32 vcc, s[12:13], v[12:13]
	v_add_u32_e32 v18, 0x400, v18
	s_or_b64 s[20:21], vcc, s[20:21]
	s_waitcnt vmcnt(0) lgkmcnt(0)
	v_fmac_f64_e32 v[20:21], v[10:11], v[22:23]
	global_store_dwordx2 v[8:9], v[20:21], off
	v_lshl_add_u64 v[8:9], v[8:9], 0, s[16:17]
	s_andn2_b64 exec, exec, s[20:21]
	s_cbranch_execnz .LBB21_24
	s_branch .LBB21_7
.LBB21_25:
	s_endpgm
	.section	.rodata,"a",@progbits
	.p2align	6, 0x0
	.amdhsa_kernel _ZN9rocsolver6v33100L22larf_left_kernel_smallILi128EdlPdEEvT1_S3_T2_lS3_lPKT0_lS4_lS3_l
		.amdhsa_group_segment_fixed_size 17408
		.amdhsa_private_segment_fixed_size 0
		.amdhsa_kernarg_size 96
		.amdhsa_user_sgpr_count 2
		.amdhsa_user_sgpr_dispatch_ptr 0
		.amdhsa_user_sgpr_queue_ptr 0
		.amdhsa_user_sgpr_kernarg_segment_ptr 1
		.amdhsa_user_sgpr_dispatch_id 0
		.amdhsa_user_sgpr_kernarg_preload_length 0
		.amdhsa_user_sgpr_kernarg_preload_offset 0
		.amdhsa_user_sgpr_private_segment_size 0
		.amdhsa_uses_dynamic_stack 0
		.amdhsa_enable_private_segment 0
		.amdhsa_system_sgpr_workgroup_id_x 1
		.amdhsa_system_sgpr_workgroup_id_y 1
		.amdhsa_system_sgpr_workgroup_id_z 0
		.amdhsa_system_sgpr_workgroup_info 0
		.amdhsa_system_vgpr_workitem_id 0
		.amdhsa_next_free_vgpr 81
		.amdhsa_next_free_sgpr 96
		.amdhsa_accum_offset 24
		.amdhsa_reserve_vcc 1
		.amdhsa_float_round_mode_32 0
		.amdhsa_float_round_mode_16_64 0
		.amdhsa_float_denorm_mode_32 3
		.amdhsa_float_denorm_mode_16_64 3
		.amdhsa_dx10_clamp 1
		.amdhsa_ieee_mode 1
		.amdhsa_fp16_overflow 0
		.amdhsa_tg_split 0
		.amdhsa_exception_fp_ieee_invalid_op 0
		.amdhsa_exception_fp_denorm_src 0
		.amdhsa_exception_fp_ieee_div_zero 0
		.amdhsa_exception_fp_ieee_overflow 0
		.amdhsa_exception_fp_ieee_underflow 0
		.amdhsa_exception_fp_ieee_inexact 0
		.amdhsa_exception_int_div_zero 0
	.end_amdhsa_kernel
	.section	.text._ZN9rocsolver6v33100L22larf_left_kernel_smallILi128EdlPdEEvT1_S3_T2_lS3_lPKT0_lS4_lS3_l,"axG",@progbits,_ZN9rocsolver6v33100L22larf_left_kernel_smallILi128EdlPdEEvT1_S3_T2_lS3_lPKT0_lS4_lS3_l,comdat
.Lfunc_end21:
	.size	_ZN9rocsolver6v33100L22larf_left_kernel_smallILi128EdlPdEEvT1_S3_T2_lS3_lPKT0_lS4_lS3_l, .Lfunc_end21-_ZN9rocsolver6v33100L22larf_left_kernel_smallILi128EdlPdEEvT1_S3_T2_lS3_lPKT0_lS4_lS3_l
                                        ; -- End function
	.set _ZN9rocsolver6v33100L22larf_left_kernel_smallILi128EdlPdEEvT1_S3_T2_lS3_lPKT0_lS4_lS3_l.num_vgpr, 24
	.set _ZN9rocsolver6v33100L22larf_left_kernel_smallILi128EdlPdEEvT1_S3_T2_lS3_lPKT0_lS4_lS3_l.num_agpr, 0
	.set _ZN9rocsolver6v33100L22larf_left_kernel_smallILi128EdlPdEEvT1_S3_T2_lS3_lPKT0_lS4_lS3_l.numbered_sgpr, 30
	.set _ZN9rocsolver6v33100L22larf_left_kernel_smallILi128EdlPdEEvT1_S3_T2_lS3_lPKT0_lS4_lS3_l.num_named_barrier, 0
	.set _ZN9rocsolver6v33100L22larf_left_kernel_smallILi128EdlPdEEvT1_S3_T2_lS3_lPKT0_lS4_lS3_l.private_seg_size, 0
	.set _ZN9rocsolver6v33100L22larf_left_kernel_smallILi128EdlPdEEvT1_S3_T2_lS3_lPKT0_lS4_lS3_l.uses_vcc, 1
	.set _ZN9rocsolver6v33100L22larf_left_kernel_smallILi128EdlPdEEvT1_S3_T2_lS3_lPKT0_lS4_lS3_l.uses_flat_scratch, 0
	.set _ZN9rocsolver6v33100L22larf_left_kernel_smallILi128EdlPdEEvT1_S3_T2_lS3_lPKT0_lS4_lS3_l.has_dyn_sized_stack, 0
	.set _ZN9rocsolver6v33100L22larf_left_kernel_smallILi128EdlPdEEvT1_S3_T2_lS3_lPKT0_lS4_lS3_l.has_recursion, 0
	.set _ZN9rocsolver6v33100L22larf_left_kernel_smallILi128EdlPdEEvT1_S3_T2_lS3_lPKT0_lS4_lS3_l.has_indirect_call, 0
	.section	.AMDGPU.csdata,"",@progbits
; Kernel info:
; codeLenInByte = 1192
; TotalNumSgprs: 36
; NumVgprs: 24
; NumAgprs: 0
; TotalNumVgprs: 24
; ScratchSize: 0
; MemoryBound: 0
; FloatMode: 240
; IeeeMode: 1
; LDSByteSize: 17408 bytes/workgroup (compile time only)
; SGPRBlocks: 12
; VGPRBlocks: 10
; NumSGPRsForWavesPerEU: 102
; NumVGPRsForWavesPerEU: 81
; AccumOffset: 24
; Occupancy: 5
; WaveLimiterHint : 0
; COMPUTE_PGM_RSRC2:SCRATCH_EN: 0
; COMPUTE_PGM_RSRC2:USER_SGPR: 2
; COMPUTE_PGM_RSRC2:TRAP_HANDLER: 0
; COMPUTE_PGM_RSRC2:TGID_X_EN: 1
; COMPUTE_PGM_RSRC2:TGID_Y_EN: 1
; COMPUTE_PGM_RSRC2:TGID_Z_EN: 0
; COMPUTE_PGM_RSRC2:TIDIG_COMP_CNT: 0
; COMPUTE_PGM_RSRC3_GFX90A:ACCUM_OFFSET: 5
; COMPUTE_PGM_RSRC3_GFX90A:TG_SPLIT: 0
	.section	.text._ZN9rocsolver6v33100L22larf_left_kernel_smallILi256EdlPdEEvT1_S3_T2_lS3_lPKT0_lS4_lS3_l,"axG",@progbits,_ZN9rocsolver6v33100L22larf_left_kernel_smallILi256EdlPdEEvT1_S3_T2_lS3_lPKT0_lS4_lS3_l,comdat
	.globl	_ZN9rocsolver6v33100L22larf_left_kernel_smallILi256EdlPdEEvT1_S3_T2_lS3_lPKT0_lS4_lS3_l ; -- Begin function _ZN9rocsolver6v33100L22larf_left_kernel_smallILi256EdlPdEEvT1_S3_T2_lS3_lPKT0_lS4_lS3_l
	.p2align	8
	.type	_ZN9rocsolver6v33100L22larf_left_kernel_smallILi256EdlPdEEvT1_S3_T2_lS3_lPKT0_lS4_lS3_l,@function
_ZN9rocsolver6v33100L22larf_left_kernel_smallILi256EdlPdEEvT1_S3_T2_lS3_lPKT0_lS4_lS3_l: ; @_ZN9rocsolver6v33100L22larf_left_kernel_smallILi256EdlPdEEvT1_S3_T2_lS3_lPKT0_lS4_lS3_l
; %bb.0:
	s_load_dwordx16 s[12:27], s[0:1], 0x0
	s_mov_b32 s10, s3
	s_mov_b64 s[6:7], 0
	s_waitcnt lgkmcnt(0)
	v_cmp_gt_i64_e64 s[4:5], s[20:21], 0
	s_and_b64 vcc, exec, s[4:5]
	s_cbranch_vccnz .LBB22_2
; %bb.1:
	s_sub_u32 s3, 1, s12
	s_subb_u32 s4, 0, s13
	s_mul_i32 s4, s20, s4
	s_mul_hi_u32 s5, s20, s3
	s_add_i32 s4, s5, s4
	s_mul_i32 s5, s21, s3
	s_add_i32 s7, s4, s5
	s_mul_i32 s6, s20, s3
.LBB22_2:
	v_mov_b32_e32 v1, 0
	v_cmp_gt_i64_e64 s[8:9], s[12:13], v[0:1]
	v_lshlrev_b32_e32 v14, 3, v0
	s_and_saveexec_b64 s[4:5], s[8:9]
	s_cbranch_execz .LBB22_5
; %bb.3:
	s_mul_i32 s3, s23, s2
	s_mul_hi_u32 s11, s22, s2
	s_add_i32 s23, s11, s3
	s_mul_i32 s22, s22, s2
	s_lshl_b64 s[22:23], s[22:23], 3
	s_lshl_b64 s[6:7], s[6:7], 3
	;; [unrolled: 1-line block ×3, first 2 shown]
	s_add_u32 s3, s16, s18
	s_addc_u32 s11, s17, s19
	v_mad_u64_u32 v[2:3], s[28:29], s20, v0, 0
	s_add_u32 s3, s3, s6
	v_mov_b32_e32 v4, v3
	s_addc_u32 s7, s11, s7
	v_mad_u64_u32 v[4:5], s[28:29], s21, v0, v[4:5]
	s_add_u32 s6, s3, s22
	v_mov_b32_e32 v3, v4
	s_addc_u32 s7, s7, s23
	v_lshl_add_u64 v[2:3], v[2:3], 3, s[6:7]
	s_lshl_b64 s[6:7], s[20:21], 11
	v_lshlrev_b32_e32 v6, 3, v0
	s_mov_b64 s[16:17], 0
	s_mov_b64 s[18:19], 0x100
	v_mov_b64_e32 v[4:5], v[0:1]
.LBB22_4:                               ; =>This Inner Loop Header: Depth=1
	global_load_dwordx2 v[8:9], v[2:3], off
	v_lshl_add_u64 v[4:5], v[4:5], 0, s[18:19]
	v_cmp_le_i64_e32 vcc, s[12:13], v[4:5]
	v_lshl_add_u64 v[2:3], v[2:3], 0, s[6:7]
	s_or_b64 s[16:17], vcc, s[16:17]
	s_waitcnt vmcnt(0)
	ds_write_b64 v6, v[8:9]
	v_add_u32_e32 v6, 0x800, v6
	s_andn2_b64 exec, exec, s[16:17]
	s_cbranch_execnz .LBB22_4
.LBB22_5:
	s_or_b64 exec, exec, s[4:5]
	s_mov_b32 s11, 0
	v_mov_b64_e32 v[2:3], s[10:11]
	v_cmp_le_i64_e32 vcc, s[14:15], v[2:3]
	s_waitcnt lgkmcnt(0)
	s_barrier
	s_cbranch_vccnz .LBB22_25
; %bb.6:
	s_load_dwordx8 s[16:23], s[0:1], 0x40
	s_mul_i32 s0, s27, s2
	s_mul_hi_u32 s1, s26, s2
	s_add_i32 s1, s1, s0
	s_mul_i32 s0, s26, s2
	s_lshl_b64 s[0:1], s[0:1], 3
	s_add_u32 s24, s24, s0
	s_addc_u32 s25, s25, s1
	s_cmp_gt_i32 s12, 1
	s_waitcnt lgkmcnt(0)
	s_mul_i32 s3, s23, s2
	s_mul_hi_u32 s23, s22, s2
	s_cselect_b64 s[26:27], -1, 0
	s_add_i32 s3, s23, s3
	s_mul_i32 s2, s22, s2
	s_mul_i32 s22, s21, s10
	s_mul_hi_u32 s23, s20, s10
	s_add_i32 s23, s23, s22
	s_mul_i32 s22, s20, s10
	s_lshl_b64 s[2:3], s[2:3], 3
	s_lshl_b64 s[22:23], s[22:23], 3
	s_add_u32 s22, s2, s22
	s_addc_u32 s23, s3, s23
	s_lshl_b64 s[2:3], s[18:19], 3
	s_add_u32 s2, s22, s2
	s_addc_u32 s3, s23, s3
	v_and_b32_e32 v2, 63, v0
	s_add_u32 s2, s16, s2
	v_mbcnt_lo_u32_b32 v8, -1, 0
	v_cmp_eq_u32_e64 s[4:5], 0, v2
	v_lshlrev_b32_e32 v2, 3, v0
	v_mov_b32_e32 v3, 0
	s_addc_u32 s3, s17, s3
	v_mbcnt_hi_u32_b32 v16, -1, v8
	v_mov_b32_e32 v8, 0x80
	v_cmp_gt_i32_e64 s[0:1], s12, v0
	v_lshrrev_b32_e32 v15, 3, v0
	v_cmp_eq_u32_e64 s[6:7], 0, v0
	v_lshl_add_u64 v[4:5], s[2:3], 0, v[2:3]
	s_lshl_b64 s[2:3], s[20:21], 9
	s_mov_b64 s[16:17], 0x800
	v_mov_b32_e32 v2, 0x4008
	s_mov_b64 s[18:19], 0x100
	v_mov_b64_e32 v[6:7], s[14:15]
	v_and_b32_e32 v17, 63, v16
	v_lshl_or_b32 v18, v16, 2, v8
	s_branch .LBB22_8
.LBB22_7:                               ;   in Loop: Header=BB22_8 Depth=1
	s_or_b64 exec, exec, s[14:15]
	s_add_u32 s10, s10, 64
	s_addc_u32 s11, s11, 0
	v_cmp_ge_i64_e32 vcc, s[10:11], v[6:7]
	v_lshl_add_u64 v[4:5], v[4:5], 0, s[2:3]
	s_cbranch_vccnz .LBB22_25
.LBB22_8:                               ; =>This Loop Header: Depth=1
                                        ;     Child Loop BB22_10 Depth 2
                                        ;     Child Loop BB22_24 Depth 2
	v_mov_b64_e32 v[8:9], 0
	s_and_saveexec_b64 s[14:15], s[0:1]
	s_cbranch_execz .LBB22_12
; %bb.9:                                ;   in Loop: Header=BB22_8 Depth=1
	v_mov_b64_e32 v[8:9], 0
	s_mov_b64 s[20:21], 0
	v_mov_b64_e32 v[10:11], v[4:5]
	v_mov_b32_e32 v12, v14
	v_mov_b32_e32 v13, v0
.LBB22_10:                              ;   Parent Loop BB22_8 Depth=1
                                        ; =>  This Inner Loop Header: Depth=2
	global_load_dwordx2 v[20:21], v[10:11], off
	ds_read_b64 v[22:23], v12
	v_add_u32_e32 v13, 0x100, v13
	v_cmp_le_i32_e32 vcc, s12, v13
	v_add_u32_e32 v12, 0x800, v12
	v_lshl_add_u64 v[10:11], v[10:11], 0, s[16:17]
	s_or_b64 s[20:21], vcc, s[20:21]
	s_waitcnt vmcnt(0) lgkmcnt(0)
	v_fmac_f64_e32 v[8:9], v[22:23], v[20:21]
	s_andn2_b64 exec, exec, s[20:21]
	s_cbranch_execnz .LBB22_10
; %bb.11:                               ;   in Loop: Header=BB22_8 Depth=1
	s_or_b64 exec, exec, s[20:21]
.LBB22_12:                              ;   in Loop: Header=BB22_8 Depth=1
	s_or_b64 exec, exec, s[14:15]
	s_and_b64 vcc, exec, s[26:27]
	s_cbranch_vccz .LBB22_19
; %bb.13:                               ;   in Loop: Header=BB22_8 Depth=1
	v_cmp_ne_u32_e32 vcc, 63, v17
	s_nop 1
	v_addc_co_u32_e32 v10, vcc, 0, v16, vcc
	v_lshlrev_b32_e32 v11, 2, v10
	ds_bpermute_b32 v10, v11, v8
	ds_bpermute_b32 v11, v11, v9
	v_cmp_gt_u32_e32 vcc, 62, v17
	s_waitcnt lgkmcnt(0)
	v_add_f64 v[10:11], v[8:9], v[10:11]
	v_cndmask_b32_e64 v12, 0, 2, vcc
	v_add_lshl_u32 v13, v12, v16, 2
	ds_bpermute_b32 v12, v13, v10
	ds_bpermute_b32 v13, v13, v11
	v_cmp_gt_u32_e32 vcc, 60, v17
	s_waitcnt lgkmcnt(0)
	v_add_f64 v[10:11], v[10:11], v[12:13]
	v_cndmask_b32_e64 v12, 0, 4, vcc
	v_add_lshl_u32 v13, v12, v16, 2
	;; [unrolled: 7-line block ×4, first 2 shown]
	ds_bpermute_b32 v12, v13, v10
	ds_bpermute_b32 v13, v13, v11
	s_waitcnt lgkmcnt(0)
	v_add_f64 v[10:11], v[10:11], v[12:13]
	ds_bpermute_b32 v12, v18, v10
	ds_bpermute_b32 v13, v18, v11
	s_waitcnt lgkmcnt(0)
	v_add_f64 v[10:11], v[10:11], v[12:13]
	s_and_saveexec_b64 s[14:15], s[4:5]
; %bb.14:                               ;   in Loop: Header=BB22_8 Depth=1
	ds_write_b64 v15, v[10:11] offset:16384
; %bb.15:                               ;   in Loop: Header=BB22_8 Depth=1
	s_or_b64 exec, exec, s[14:15]
	s_mov_b64 s[20:21], 0
	s_mov_b64 s[14:15], 0
	s_waitcnt lgkmcnt(0)
	s_barrier
                                        ; implicit-def: $vgpr12_vgpr13
	s_and_saveexec_b64 s[22:23], s[6:7]
	s_xor_b64 s[22:23], exec, s[22:23]
	s_cbranch_execz .LBB22_17
; %bb.16:                               ;   in Loop: Header=BB22_8 Depth=1
	ds_read2_b64 v[20:23], v2 offset1:1
	ds_read_b64 v[12:13], v3 offset:16408
	s_mov_b64 s[14:15], exec
	s_waitcnt lgkmcnt(1)
	v_add_f64 v[10:11], v[10:11], v[20:21]
	v_add_f64 v[10:11], v[10:11], v[22:23]
	s_waitcnt lgkmcnt(0)
	v_add_f64 v[12:13], v[10:11], v[12:13]
.LBB22_17:                              ;   in Loop: Header=BB22_8 Depth=1
	s_or_b64 exec, exec, s[22:23]
	s_and_b64 vcc, exec, s[20:21]
	s_cbranch_vccnz .LBB22_20
.LBB22_18:                              ;   in Loop: Header=BB22_8 Depth=1
	v_mov_b64_e32 v[8:9], v[12:13]
	s_and_saveexec_b64 s[20:21], s[14:15]
	s_cbranch_execnz .LBB22_21
	s_branch .LBB22_22
.LBB22_19:                              ;   in Loop: Header=BB22_8 Depth=1
	s_mov_b64 s[14:15], 0
                                        ; implicit-def: $vgpr12_vgpr13
	s_cbranch_execz .LBB22_18
.LBB22_20:                              ;   in Loop: Header=BB22_8 Depth=1
	s_andn2_b64 s[14:15], s[14:15], exec
	s_and_b64 s[20:21], s[6:7], exec
	s_or_b64 s[14:15], s[14:15], s[20:21]
	s_and_saveexec_b64 s[20:21], s[14:15]
.LBB22_21:                              ;   in Loop: Header=BB22_8 Depth=1
	ds_write_b64 v3, v[8:9] offset:16384
.LBB22_22:                              ;   in Loop: Header=BB22_8 Depth=1
	s_or_b64 exec, exec, s[20:21]
	s_waitcnt lgkmcnt(0)
	s_barrier
	s_and_saveexec_b64 s[14:15], s[8:9]
	s_cbranch_execz .LBB22_7
; %bb.23:                               ;   in Loop: Header=BB22_8 Depth=1
	global_load_dwordx2 v[10:11], v3, s[24:25]
	ds_read_b64 v[12:13], v3 offset:16384
	s_mov_b64 s[20:21], 0
	v_mov_b64_e32 v[8:9], v[4:5]
	v_mov_b32_e32 v19, v14
	s_waitcnt vmcnt(0) lgkmcnt(0)
	v_mul_f64 v[10:11], v[12:13], -v[10:11]
	v_mov_b64_e32 v[12:13], v[0:1]
.LBB22_24:                              ;   Parent Loop BB22_8 Depth=1
                                        ; =>  This Inner Loop Header: Depth=2
	global_load_dwordx2 v[20:21], v[8:9], off
	ds_read_b64 v[22:23], v19
	v_lshl_add_u64 v[12:13], v[12:13], 0, s[18:19]
	v_cmp_le_i64_e32 vcc, s[12:13], v[12:13]
	v_add_u32_e32 v19, 0x800, v19
	s_or_b64 s[20:21], vcc, s[20:21]
	s_waitcnt vmcnt(0) lgkmcnt(0)
	v_fmac_f64_e32 v[20:21], v[10:11], v[22:23]
	global_store_dwordx2 v[8:9], v[20:21], off
	v_lshl_add_u64 v[8:9], v[8:9], 0, s[16:17]
	s_andn2_b64 exec, exec, s[20:21]
	s_cbranch_execnz .LBB22_24
	s_branch .LBB22_7
.LBB22_25:
	s_endpgm
	.section	.rodata,"a",@progbits
	.p2align	6, 0x0
	.amdhsa_kernel _ZN9rocsolver6v33100L22larf_left_kernel_smallILi256EdlPdEEvT1_S3_T2_lS3_lPKT0_lS4_lS3_l
		.amdhsa_group_segment_fixed_size 18432
		.amdhsa_private_segment_fixed_size 0
		.amdhsa_kernarg_size 96
		.amdhsa_user_sgpr_count 2
		.amdhsa_user_sgpr_dispatch_ptr 0
		.amdhsa_user_sgpr_queue_ptr 0
		.amdhsa_user_sgpr_kernarg_segment_ptr 1
		.amdhsa_user_sgpr_dispatch_id 0
		.amdhsa_user_sgpr_kernarg_preload_length 0
		.amdhsa_user_sgpr_kernarg_preload_offset 0
		.amdhsa_user_sgpr_private_segment_size 0
		.amdhsa_uses_dynamic_stack 0
		.amdhsa_enable_private_segment 0
		.amdhsa_system_sgpr_workgroup_id_x 1
		.amdhsa_system_sgpr_workgroup_id_y 1
		.amdhsa_system_sgpr_workgroup_id_z 0
		.amdhsa_system_sgpr_workgroup_info 0
		.amdhsa_system_vgpr_workitem_id 0
		.amdhsa_next_free_vgpr 24
		.amdhsa_next_free_sgpr 30
		.amdhsa_accum_offset 24
		.amdhsa_reserve_vcc 1
		.amdhsa_float_round_mode_32 0
		.amdhsa_float_round_mode_16_64 0
		.amdhsa_float_denorm_mode_32 3
		.amdhsa_float_denorm_mode_16_64 3
		.amdhsa_dx10_clamp 1
		.amdhsa_ieee_mode 1
		.amdhsa_fp16_overflow 0
		.amdhsa_tg_split 0
		.amdhsa_exception_fp_ieee_invalid_op 0
		.amdhsa_exception_fp_denorm_src 0
		.amdhsa_exception_fp_ieee_div_zero 0
		.amdhsa_exception_fp_ieee_overflow 0
		.amdhsa_exception_fp_ieee_underflow 0
		.amdhsa_exception_fp_ieee_inexact 0
		.amdhsa_exception_int_div_zero 0
	.end_amdhsa_kernel
	.section	.text._ZN9rocsolver6v33100L22larf_left_kernel_smallILi256EdlPdEEvT1_S3_T2_lS3_lPKT0_lS4_lS3_l,"axG",@progbits,_ZN9rocsolver6v33100L22larf_left_kernel_smallILi256EdlPdEEvT1_S3_T2_lS3_lPKT0_lS4_lS3_l,comdat
.Lfunc_end22:
	.size	_ZN9rocsolver6v33100L22larf_left_kernel_smallILi256EdlPdEEvT1_S3_T2_lS3_lPKT0_lS4_lS3_l, .Lfunc_end22-_ZN9rocsolver6v33100L22larf_left_kernel_smallILi256EdlPdEEvT1_S3_T2_lS3_lPKT0_lS4_lS3_l
                                        ; -- End function
	.set _ZN9rocsolver6v33100L22larf_left_kernel_smallILi256EdlPdEEvT1_S3_T2_lS3_lPKT0_lS4_lS3_l.num_vgpr, 24
	.set _ZN9rocsolver6v33100L22larf_left_kernel_smallILi256EdlPdEEvT1_S3_T2_lS3_lPKT0_lS4_lS3_l.num_agpr, 0
	.set _ZN9rocsolver6v33100L22larf_left_kernel_smallILi256EdlPdEEvT1_S3_T2_lS3_lPKT0_lS4_lS3_l.numbered_sgpr, 30
	.set _ZN9rocsolver6v33100L22larf_left_kernel_smallILi256EdlPdEEvT1_S3_T2_lS3_lPKT0_lS4_lS3_l.num_named_barrier, 0
	.set _ZN9rocsolver6v33100L22larf_left_kernel_smallILi256EdlPdEEvT1_S3_T2_lS3_lPKT0_lS4_lS3_l.private_seg_size, 0
	.set _ZN9rocsolver6v33100L22larf_left_kernel_smallILi256EdlPdEEvT1_S3_T2_lS3_lPKT0_lS4_lS3_l.uses_vcc, 1
	.set _ZN9rocsolver6v33100L22larf_left_kernel_smallILi256EdlPdEEvT1_S3_T2_lS3_lPKT0_lS4_lS3_l.uses_flat_scratch, 0
	.set _ZN9rocsolver6v33100L22larf_left_kernel_smallILi256EdlPdEEvT1_S3_T2_lS3_lPKT0_lS4_lS3_l.has_dyn_sized_stack, 0
	.set _ZN9rocsolver6v33100L22larf_left_kernel_smallILi256EdlPdEEvT1_S3_T2_lS3_lPKT0_lS4_lS3_l.has_recursion, 0
	.set _ZN9rocsolver6v33100L22larf_left_kernel_smallILi256EdlPdEEvT1_S3_T2_lS3_lPKT0_lS4_lS3_l.has_indirect_call, 0
	.section	.AMDGPU.csdata,"",@progbits
; Kernel info:
; codeLenInByte = 1228
; TotalNumSgprs: 36
; NumVgprs: 24
; NumAgprs: 0
; TotalNumVgprs: 24
; ScratchSize: 0
; MemoryBound: 0
; FloatMode: 240
; IeeeMode: 1
; LDSByteSize: 18432 bytes/workgroup (compile time only)
; SGPRBlocks: 4
; VGPRBlocks: 2
; NumSGPRsForWavesPerEU: 36
; NumVGPRsForWavesPerEU: 24
; AccumOffset: 24
; Occupancy: 8
; WaveLimiterHint : 0
; COMPUTE_PGM_RSRC2:SCRATCH_EN: 0
; COMPUTE_PGM_RSRC2:USER_SGPR: 2
; COMPUTE_PGM_RSRC2:TRAP_HANDLER: 0
; COMPUTE_PGM_RSRC2:TGID_X_EN: 1
; COMPUTE_PGM_RSRC2:TGID_Y_EN: 1
; COMPUTE_PGM_RSRC2:TGID_Z_EN: 0
; COMPUTE_PGM_RSRC2:TIDIG_COMP_CNT: 0
; COMPUTE_PGM_RSRC3_GFX90A:ACCUM_OFFSET: 5
; COMPUTE_PGM_RSRC3_GFX90A:TG_SPLIT: 0
	.section	.text._ZN9rocsolver6v33100L22larf_left_kernel_smallILi512EdlPdEEvT1_S3_T2_lS3_lPKT0_lS4_lS3_l,"axG",@progbits,_ZN9rocsolver6v33100L22larf_left_kernel_smallILi512EdlPdEEvT1_S3_T2_lS3_lPKT0_lS4_lS3_l,comdat
	.globl	_ZN9rocsolver6v33100L22larf_left_kernel_smallILi512EdlPdEEvT1_S3_T2_lS3_lPKT0_lS4_lS3_l ; -- Begin function _ZN9rocsolver6v33100L22larf_left_kernel_smallILi512EdlPdEEvT1_S3_T2_lS3_lPKT0_lS4_lS3_l
	.p2align	8
	.type	_ZN9rocsolver6v33100L22larf_left_kernel_smallILi512EdlPdEEvT1_S3_T2_lS3_lPKT0_lS4_lS3_l,@function
_ZN9rocsolver6v33100L22larf_left_kernel_smallILi512EdlPdEEvT1_S3_T2_lS3_lPKT0_lS4_lS3_l: ; @_ZN9rocsolver6v33100L22larf_left_kernel_smallILi512EdlPdEEvT1_S3_T2_lS3_lPKT0_lS4_lS3_l
; %bb.0:
	s_load_dwordx16 s[12:27], s[0:1], 0x0
	s_mov_b32 s10, s3
	s_mov_b64 s[6:7], 0
	s_waitcnt lgkmcnt(0)
	v_cmp_gt_i64_e64 s[4:5], s[20:21], 0
	s_and_b64 vcc, exec, s[4:5]
	s_cbranch_vccnz .LBB23_2
; %bb.1:
	s_sub_u32 s3, 1, s12
	s_subb_u32 s4, 0, s13
	s_mul_i32 s4, s20, s4
	s_mul_hi_u32 s5, s20, s3
	s_add_i32 s4, s5, s4
	s_mul_i32 s5, s21, s3
	s_add_i32 s7, s4, s5
	s_mul_i32 s6, s20, s3
.LBB23_2:
	v_mov_b32_e32 v1, 0
	v_cmp_gt_i64_e64 s[8:9], s[12:13], v[0:1]
	v_lshlrev_b32_e32 v14, 3, v0
	s_and_saveexec_b64 s[4:5], s[8:9]
	s_cbranch_execz .LBB23_5
; %bb.3:
	s_mul_i32 s3, s23, s2
	s_mul_hi_u32 s11, s22, s2
	s_add_i32 s23, s11, s3
	s_mul_i32 s22, s22, s2
	s_lshl_b64 s[22:23], s[22:23], 3
	s_lshl_b64 s[6:7], s[6:7], 3
	;; [unrolled: 1-line block ×3, first 2 shown]
	s_add_u32 s3, s16, s18
	s_addc_u32 s11, s17, s19
	v_mad_u64_u32 v[2:3], s[28:29], s20, v0, 0
	s_add_u32 s3, s3, s6
	v_mov_b32_e32 v4, v3
	s_addc_u32 s7, s11, s7
	v_mad_u64_u32 v[4:5], s[28:29], s21, v0, v[4:5]
	s_add_u32 s6, s3, s22
	v_mov_b32_e32 v3, v4
	s_addc_u32 s7, s7, s23
	v_lshl_add_u64 v[2:3], v[2:3], 3, s[6:7]
	s_lshl_b64 s[6:7], s[20:21], 12
	v_lshlrev_b32_e32 v6, 3, v0
	s_mov_b64 s[16:17], 0
	s_mov_b64 s[18:19], 0x200
	v_mov_b64_e32 v[4:5], v[0:1]
.LBB23_4:                               ; =>This Inner Loop Header: Depth=1
	global_load_dwordx2 v[8:9], v[2:3], off
	v_lshl_add_u64 v[4:5], v[4:5], 0, s[18:19]
	v_cmp_le_i64_e32 vcc, s[12:13], v[4:5]
	v_lshl_add_u64 v[2:3], v[2:3], 0, s[6:7]
	s_or_b64 s[16:17], vcc, s[16:17]
	s_waitcnt vmcnt(0)
	ds_write_b64 v6, v[8:9]
	v_add_u32_e32 v6, 0x1000, v6
	s_andn2_b64 exec, exec, s[16:17]
	s_cbranch_execnz .LBB23_4
.LBB23_5:
	s_or_b64 exec, exec, s[4:5]
	s_mov_b32 s11, 0
	v_mov_b64_e32 v[2:3], s[10:11]
	v_cmp_le_i64_e32 vcc, s[14:15], v[2:3]
	s_waitcnt lgkmcnt(0)
	s_barrier
	s_cbranch_vccnz .LBB23_25
; %bb.6:
	s_load_dwordx8 s[16:23], s[0:1], 0x40
	s_mul_i32 s0, s27, s2
	s_mul_hi_u32 s1, s26, s2
	s_add_i32 s1, s1, s0
	s_mul_i32 s0, s26, s2
	s_lshl_b64 s[0:1], s[0:1], 3
	s_add_u32 s24, s24, s0
	s_addc_u32 s25, s25, s1
	s_cmp_gt_i32 s12, 1
	s_waitcnt lgkmcnt(0)
	s_mul_i32 s3, s23, s2
	s_mul_hi_u32 s23, s22, s2
	s_cselect_b64 s[26:27], -1, 0
	s_add_i32 s3, s23, s3
	s_mul_i32 s2, s22, s2
	s_mul_i32 s22, s21, s10
	s_mul_hi_u32 s23, s20, s10
	s_add_i32 s23, s23, s22
	s_mul_i32 s22, s20, s10
	s_lshl_b64 s[2:3], s[2:3], 3
	s_lshl_b64 s[22:23], s[22:23], 3
	s_add_u32 s22, s2, s22
	s_addc_u32 s23, s3, s23
	s_lshl_b64 s[2:3], s[18:19], 3
	s_add_u32 s2, s22, s2
	s_addc_u32 s3, s23, s3
	v_and_b32_e32 v2, 63, v0
	s_add_u32 s2, s16, s2
	v_mbcnt_lo_u32_b32 v8, -1, 0
	v_cmp_eq_u32_e64 s[4:5], 0, v2
	v_lshlrev_b32_e32 v2, 3, v0
	v_mov_b32_e32 v3, 0
	s_addc_u32 s3, s17, s3
	v_mbcnt_hi_u32_b32 v18, -1, v8
	v_mov_b32_e32 v8, 0x80
	v_cmp_gt_i32_e64 s[0:1], s12, v0
	v_lshrrev_b32_e32 v15, 3, v0
	v_cmp_eq_u32_e64 s[6:7], 0, v0
	v_lshl_add_u64 v[4:5], s[2:3], 0, v[2:3]
	s_lshl_b64 s[2:3], s[20:21], 9
	s_mov_b64 s[16:17], 0x1000
	v_mov_b32_e32 v2, 0x4008
	v_mov_b32_e32 v16, 0x4018
	;; [unrolled: 1-line block ×3, first 2 shown]
	s_mov_b64 s[18:19], 0x200
	v_mov_b64_e32 v[6:7], s[14:15]
	v_and_b32_e32 v19, 63, v18
	v_lshl_or_b32 v20, v18, 2, v8
	s_branch .LBB23_8
.LBB23_7:                               ;   in Loop: Header=BB23_8 Depth=1
	s_or_b64 exec, exec, s[14:15]
	s_add_u32 s10, s10, 64
	s_addc_u32 s11, s11, 0
	v_cmp_ge_i64_e32 vcc, s[10:11], v[6:7]
	v_lshl_add_u64 v[4:5], v[4:5], 0, s[2:3]
	s_cbranch_vccnz .LBB23_25
.LBB23_8:                               ; =>This Loop Header: Depth=1
                                        ;     Child Loop BB23_10 Depth 2
                                        ;     Child Loop BB23_24 Depth 2
	v_mov_b64_e32 v[8:9], 0
	s_and_saveexec_b64 s[14:15], s[0:1]
	s_cbranch_execz .LBB23_12
; %bb.9:                                ;   in Loop: Header=BB23_8 Depth=1
	v_mov_b64_e32 v[8:9], 0
	s_mov_b64 s[20:21], 0
	v_mov_b64_e32 v[10:11], v[4:5]
	v_mov_b32_e32 v12, v14
	v_mov_b32_e32 v13, v0
.LBB23_10:                              ;   Parent Loop BB23_8 Depth=1
                                        ; =>  This Inner Loop Header: Depth=2
	global_load_dwordx2 v[22:23], v[10:11], off
	ds_read_b64 v[24:25], v12
	v_add_u32_e32 v13, 0x200, v13
	v_cmp_le_i32_e32 vcc, s12, v13
	v_add_u32_e32 v12, 0x1000, v12
	v_lshl_add_u64 v[10:11], v[10:11], 0, s[16:17]
	s_or_b64 s[20:21], vcc, s[20:21]
	s_waitcnt vmcnt(0) lgkmcnt(0)
	v_fmac_f64_e32 v[8:9], v[24:25], v[22:23]
	s_andn2_b64 exec, exec, s[20:21]
	s_cbranch_execnz .LBB23_10
; %bb.11:                               ;   in Loop: Header=BB23_8 Depth=1
	s_or_b64 exec, exec, s[20:21]
.LBB23_12:                              ;   in Loop: Header=BB23_8 Depth=1
	s_or_b64 exec, exec, s[14:15]
	s_and_b64 vcc, exec, s[26:27]
	s_cbranch_vccz .LBB23_19
; %bb.13:                               ;   in Loop: Header=BB23_8 Depth=1
	v_cmp_ne_u32_e32 vcc, 63, v19
	s_nop 1
	v_addc_co_u32_e32 v10, vcc, 0, v18, vcc
	v_lshlrev_b32_e32 v11, 2, v10
	ds_bpermute_b32 v10, v11, v8
	ds_bpermute_b32 v11, v11, v9
	v_cmp_gt_u32_e32 vcc, 62, v19
	s_waitcnt lgkmcnt(0)
	v_add_f64 v[10:11], v[8:9], v[10:11]
	v_cndmask_b32_e64 v12, 0, 2, vcc
	v_add_lshl_u32 v13, v12, v18, 2
	ds_bpermute_b32 v12, v13, v10
	ds_bpermute_b32 v13, v13, v11
	v_cmp_gt_u32_e32 vcc, 60, v19
	s_waitcnt lgkmcnt(0)
	v_add_f64 v[10:11], v[10:11], v[12:13]
	v_cndmask_b32_e64 v12, 0, 4, vcc
	v_add_lshl_u32 v13, v12, v18, 2
	;; [unrolled: 7-line block ×4, first 2 shown]
	ds_bpermute_b32 v12, v13, v10
	ds_bpermute_b32 v13, v13, v11
	s_waitcnt lgkmcnt(0)
	v_add_f64 v[10:11], v[10:11], v[12:13]
	ds_bpermute_b32 v12, v20, v10
	ds_bpermute_b32 v13, v20, v11
	s_waitcnt lgkmcnt(0)
	v_add_f64 v[10:11], v[10:11], v[12:13]
	s_and_saveexec_b64 s[14:15], s[4:5]
; %bb.14:                               ;   in Loop: Header=BB23_8 Depth=1
	ds_write_b64 v15, v[10:11] offset:16384
; %bb.15:                               ;   in Loop: Header=BB23_8 Depth=1
	s_or_b64 exec, exec, s[14:15]
	s_mov_b64 s[20:21], 0
	s_mov_b64 s[14:15], 0
	s_waitcnt lgkmcnt(0)
	s_barrier
                                        ; implicit-def: $vgpr12_vgpr13
	s_and_saveexec_b64 s[22:23], s[6:7]
	s_xor_b64 s[22:23], exec, s[22:23]
	s_cbranch_execz .LBB23_17
; %bb.16:                               ;   in Loop: Header=BB23_8 Depth=1
	ds_read2_b64 v[22:25], v2 offset1:1
	ds_read2_b64 v[26:29], v16 offset1:1
	;; [unrolled: 1-line block ×3, first 2 shown]
	ds_read_b64 v[12:13], v3 offset:16440
	s_mov_b64 s[14:15], exec
	s_waitcnt lgkmcnt(3)
	v_add_f64 v[10:11], v[10:11], v[22:23]
	v_add_f64 v[10:11], v[10:11], v[24:25]
	s_waitcnt lgkmcnt(2)
	v_add_f64 v[10:11], v[10:11], v[26:27]
	v_add_f64 v[10:11], v[10:11], v[28:29]
	;; [unrolled: 3-line block ×3, first 2 shown]
	s_waitcnt lgkmcnt(0)
	v_add_f64 v[12:13], v[10:11], v[12:13]
.LBB23_17:                              ;   in Loop: Header=BB23_8 Depth=1
	s_or_b64 exec, exec, s[22:23]
	s_and_b64 vcc, exec, s[20:21]
	s_cbranch_vccnz .LBB23_20
.LBB23_18:                              ;   in Loop: Header=BB23_8 Depth=1
	v_mov_b64_e32 v[8:9], v[12:13]
	s_and_saveexec_b64 s[20:21], s[14:15]
	s_cbranch_execnz .LBB23_21
	s_branch .LBB23_22
.LBB23_19:                              ;   in Loop: Header=BB23_8 Depth=1
	s_mov_b64 s[14:15], 0
                                        ; implicit-def: $vgpr12_vgpr13
	s_cbranch_execz .LBB23_18
.LBB23_20:                              ;   in Loop: Header=BB23_8 Depth=1
	s_andn2_b64 s[14:15], s[14:15], exec
	s_and_b64 s[20:21], s[6:7], exec
	s_or_b64 s[14:15], s[14:15], s[20:21]
	s_and_saveexec_b64 s[20:21], s[14:15]
.LBB23_21:                              ;   in Loop: Header=BB23_8 Depth=1
	ds_write_b64 v3, v[8:9] offset:16384
.LBB23_22:                              ;   in Loop: Header=BB23_8 Depth=1
	s_or_b64 exec, exec, s[20:21]
	s_waitcnt lgkmcnt(0)
	s_barrier
	s_and_saveexec_b64 s[14:15], s[8:9]
	s_cbranch_execz .LBB23_7
; %bb.23:                               ;   in Loop: Header=BB23_8 Depth=1
	global_load_dwordx2 v[10:11], v3, s[24:25]
	ds_read_b64 v[12:13], v3 offset:16384
	s_mov_b64 s[20:21], 0
	v_mov_b64_e32 v[8:9], v[4:5]
	v_mov_b32_e32 v21, v14
	s_waitcnt vmcnt(0) lgkmcnt(0)
	v_mul_f64 v[10:11], v[12:13], -v[10:11]
	v_mov_b64_e32 v[12:13], v[0:1]
.LBB23_24:                              ;   Parent Loop BB23_8 Depth=1
                                        ; =>  This Inner Loop Header: Depth=2
	global_load_dwordx2 v[22:23], v[8:9], off
	ds_read_b64 v[24:25], v21
	v_lshl_add_u64 v[12:13], v[12:13], 0, s[18:19]
	v_cmp_le_i64_e32 vcc, s[12:13], v[12:13]
	v_add_u32_e32 v21, 0x1000, v21
	s_or_b64 s[20:21], vcc, s[20:21]
	s_waitcnt vmcnt(0) lgkmcnt(0)
	v_fmac_f64_e32 v[22:23], v[10:11], v[24:25]
	global_store_dwordx2 v[8:9], v[22:23], off
	v_lshl_add_u64 v[8:9], v[8:9], 0, s[16:17]
	s_andn2_b64 exec, exec, s[20:21]
	s_cbranch_execnz .LBB23_24
	s_branch .LBB23_7
.LBB23_25:
	s_endpgm
	.section	.rodata,"a",@progbits
	.p2align	6, 0x0
	.amdhsa_kernel _ZN9rocsolver6v33100L22larf_left_kernel_smallILi512EdlPdEEvT1_S3_T2_lS3_lPKT0_lS4_lS3_l
		.amdhsa_group_segment_fixed_size 20480
		.amdhsa_private_segment_fixed_size 0
		.amdhsa_kernarg_size 96
		.amdhsa_user_sgpr_count 2
		.amdhsa_user_sgpr_dispatch_ptr 0
		.amdhsa_user_sgpr_queue_ptr 0
		.amdhsa_user_sgpr_kernarg_segment_ptr 1
		.amdhsa_user_sgpr_dispatch_id 0
		.amdhsa_user_sgpr_kernarg_preload_length 0
		.amdhsa_user_sgpr_kernarg_preload_offset 0
		.amdhsa_user_sgpr_private_segment_size 0
		.amdhsa_uses_dynamic_stack 0
		.amdhsa_enable_private_segment 0
		.amdhsa_system_sgpr_workgroup_id_x 1
		.amdhsa_system_sgpr_workgroup_id_y 1
		.amdhsa_system_sgpr_workgroup_id_z 0
		.amdhsa_system_sgpr_workgroup_info 0
		.amdhsa_system_vgpr_workitem_id 0
		.amdhsa_next_free_vgpr 34
		.amdhsa_next_free_sgpr 30
		.amdhsa_accum_offset 36
		.amdhsa_reserve_vcc 1
		.amdhsa_float_round_mode_32 0
		.amdhsa_float_round_mode_16_64 0
		.amdhsa_float_denorm_mode_32 3
		.amdhsa_float_denorm_mode_16_64 3
		.amdhsa_dx10_clamp 1
		.amdhsa_ieee_mode 1
		.amdhsa_fp16_overflow 0
		.amdhsa_tg_split 0
		.amdhsa_exception_fp_ieee_invalid_op 0
		.amdhsa_exception_fp_denorm_src 0
		.amdhsa_exception_fp_ieee_div_zero 0
		.amdhsa_exception_fp_ieee_overflow 0
		.amdhsa_exception_fp_ieee_underflow 0
		.amdhsa_exception_fp_ieee_inexact 0
		.amdhsa_exception_int_div_zero 0
	.end_amdhsa_kernel
	.section	.text._ZN9rocsolver6v33100L22larf_left_kernel_smallILi512EdlPdEEvT1_S3_T2_lS3_lPKT0_lS4_lS3_l,"axG",@progbits,_ZN9rocsolver6v33100L22larf_left_kernel_smallILi512EdlPdEEvT1_S3_T2_lS3_lPKT0_lS4_lS3_l,comdat
.Lfunc_end23:
	.size	_ZN9rocsolver6v33100L22larf_left_kernel_smallILi512EdlPdEEvT1_S3_T2_lS3_lPKT0_lS4_lS3_l, .Lfunc_end23-_ZN9rocsolver6v33100L22larf_left_kernel_smallILi512EdlPdEEvT1_S3_T2_lS3_lPKT0_lS4_lS3_l
                                        ; -- End function
	.set _ZN9rocsolver6v33100L22larf_left_kernel_smallILi512EdlPdEEvT1_S3_T2_lS3_lPKT0_lS4_lS3_l.num_vgpr, 34
	.set _ZN9rocsolver6v33100L22larf_left_kernel_smallILi512EdlPdEEvT1_S3_T2_lS3_lPKT0_lS4_lS3_l.num_agpr, 0
	.set _ZN9rocsolver6v33100L22larf_left_kernel_smallILi512EdlPdEEvT1_S3_T2_lS3_lPKT0_lS4_lS3_l.numbered_sgpr, 30
	.set _ZN9rocsolver6v33100L22larf_left_kernel_smallILi512EdlPdEEvT1_S3_T2_lS3_lPKT0_lS4_lS3_l.num_named_barrier, 0
	.set _ZN9rocsolver6v33100L22larf_left_kernel_smallILi512EdlPdEEvT1_S3_T2_lS3_lPKT0_lS4_lS3_l.private_seg_size, 0
	.set _ZN9rocsolver6v33100L22larf_left_kernel_smallILi512EdlPdEEvT1_S3_T2_lS3_lPKT0_lS4_lS3_l.uses_vcc, 1
	.set _ZN9rocsolver6v33100L22larf_left_kernel_smallILi512EdlPdEEvT1_S3_T2_lS3_lPKT0_lS4_lS3_l.uses_flat_scratch, 0
	.set _ZN9rocsolver6v33100L22larf_left_kernel_smallILi512EdlPdEEvT1_S3_T2_lS3_lPKT0_lS4_lS3_l.has_dyn_sized_stack, 0
	.set _ZN9rocsolver6v33100L22larf_left_kernel_smallILi512EdlPdEEvT1_S3_T2_lS3_lPKT0_lS4_lS3_l.has_recursion, 0
	.set _ZN9rocsolver6v33100L22larf_left_kernel_smallILi512EdlPdEEvT1_S3_T2_lS3_lPKT0_lS4_lS3_l.has_indirect_call, 0
	.section	.AMDGPU.csdata,"",@progbits
; Kernel info:
; codeLenInByte = 1300
; TotalNumSgprs: 36
; NumVgprs: 34
; NumAgprs: 0
; TotalNumVgprs: 34
; ScratchSize: 0
; MemoryBound: 0
; FloatMode: 240
; IeeeMode: 1
; LDSByteSize: 20480 bytes/workgroup (compile time only)
; SGPRBlocks: 4
; VGPRBlocks: 4
; NumSGPRsForWavesPerEU: 36
; NumVGPRsForWavesPerEU: 34
; AccumOffset: 36
; Occupancy: 8
; WaveLimiterHint : 0
; COMPUTE_PGM_RSRC2:SCRATCH_EN: 0
; COMPUTE_PGM_RSRC2:USER_SGPR: 2
; COMPUTE_PGM_RSRC2:TRAP_HANDLER: 0
; COMPUTE_PGM_RSRC2:TGID_X_EN: 1
; COMPUTE_PGM_RSRC2:TGID_Y_EN: 1
; COMPUTE_PGM_RSRC2:TGID_Z_EN: 0
; COMPUTE_PGM_RSRC2:TIDIG_COMP_CNT: 0
; COMPUTE_PGM_RSRC3_GFX90A:ACCUM_OFFSET: 8
; COMPUTE_PGM_RSRC3_GFX90A:TG_SPLIT: 0
	.section	.text._ZN9rocsolver6v33100L22larf_left_kernel_smallILi1024EdlPdEEvT1_S3_T2_lS3_lPKT0_lS4_lS3_l,"axG",@progbits,_ZN9rocsolver6v33100L22larf_left_kernel_smallILi1024EdlPdEEvT1_S3_T2_lS3_lPKT0_lS4_lS3_l,comdat
	.globl	_ZN9rocsolver6v33100L22larf_left_kernel_smallILi1024EdlPdEEvT1_S3_T2_lS3_lPKT0_lS4_lS3_l ; -- Begin function _ZN9rocsolver6v33100L22larf_left_kernel_smallILi1024EdlPdEEvT1_S3_T2_lS3_lPKT0_lS4_lS3_l
	.p2align	8
	.type	_ZN9rocsolver6v33100L22larf_left_kernel_smallILi1024EdlPdEEvT1_S3_T2_lS3_lPKT0_lS4_lS3_l,@function
_ZN9rocsolver6v33100L22larf_left_kernel_smallILi1024EdlPdEEvT1_S3_T2_lS3_lPKT0_lS4_lS3_l: ; @_ZN9rocsolver6v33100L22larf_left_kernel_smallILi1024EdlPdEEvT1_S3_T2_lS3_lPKT0_lS4_lS3_l
; %bb.0:
	s_load_dwordx16 s[12:27], s[0:1], 0x0
	s_mov_b32 s10, s3
	s_mov_b64 s[6:7], 0
	s_waitcnt lgkmcnt(0)
	v_cmp_gt_i64_e64 s[4:5], s[20:21], 0
	s_and_b64 vcc, exec, s[4:5]
	s_cbranch_vccnz .LBB24_2
; %bb.1:
	s_sub_u32 s3, 1, s12
	s_subb_u32 s4, 0, s13
	s_mul_i32 s4, s20, s4
	s_mul_hi_u32 s5, s20, s3
	s_add_i32 s4, s5, s4
	s_mul_i32 s5, s21, s3
	s_add_i32 s7, s4, s5
	s_mul_i32 s6, s20, s3
.LBB24_2:
	v_mov_b32_e32 v1, 0
	v_cmp_gt_i64_e64 s[8:9], s[12:13], v[0:1]
	v_lshlrev_b32_e32 v14, 3, v0
	s_and_saveexec_b64 s[4:5], s[8:9]
	s_cbranch_execz .LBB24_5
; %bb.3:
	s_mul_i32 s3, s23, s2
	s_mul_hi_u32 s11, s22, s2
	s_add_i32 s23, s11, s3
	s_mul_i32 s22, s22, s2
	s_lshl_b64 s[22:23], s[22:23], 3
	s_lshl_b64 s[6:7], s[6:7], 3
	;; [unrolled: 1-line block ×3, first 2 shown]
	s_add_u32 s3, s16, s18
	s_addc_u32 s11, s17, s19
	v_mad_u64_u32 v[2:3], s[28:29], s20, v0, 0
	s_add_u32 s3, s3, s6
	v_mov_b32_e32 v4, v3
	s_addc_u32 s7, s11, s7
	v_mad_u64_u32 v[4:5], s[28:29], s21, v0, v[4:5]
	s_add_u32 s6, s3, s22
	v_mov_b32_e32 v3, v4
	s_addc_u32 s7, s7, s23
	v_lshl_add_u64 v[2:3], v[2:3], 3, s[6:7]
	s_lshl_b64 s[6:7], s[20:21], 13
	v_lshlrev_b32_e32 v6, 3, v0
	s_mov_b64 s[16:17], 0
	s_mov_b64 s[18:19], 0x400
	v_mov_b64_e32 v[4:5], v[0:1]
.LBB24_4:                               ; =>This Inner Loop Header: Depth=1
	global_load_dwordx2 v[8:9], v[2:3], off
	v_lshl_add_u64 v[4:5], v[4:5], 0, s[18:19]
	v_cmp_le_i64_e32 vcc, s[12:13], v[4:5]
	v_lshl_add_u64 v[2:3], v[2:3], 0, s[6:7]
	s_or_b64 s[16:17], vcc, s[16:17]
	s_waitcnt vmcnt(0)
	ds_write_b64 v6, v[8:9]
	v_add_u32_e32 v6, 0x2000, v6
	s_andn2_b64 exec, exec, s[16:17]
	s_cbranch_execnz .LBB24_4
.LBB24_5:
	s_or_b64 exec, exec, s[4:5]
	s_mov_b32 s11, 0
	v_mov_b64_e32 v[2:3], s[10:11]
	v_cmp_le_i64_e32 vcc, s[14:15], v[2:3]
	s_waitcnt lgkmcnt(0)
	s_barrier
	s_cbranch_vccnz .LBB24_25
; %bb.6:
	s_load_dwordx8 s[16:23], s[0:1], 0x40
	s_mul_i32 s0, s27, s2
	s_mul_hi_u32 s1, s26, s2
	s_add_i32 s1, s1, s0
	s_mul_i32 s0, s26, s2
	s_lshl_b64 s[0:1], s[0:1], 3
	s_add_u32 s24, s24, s0
	s_addc_u32 s25, s25, s1
	s_cmp_gt_i32 s12, 1
	s_waitcnt lgkmcnt(0)
	s_mul_i32 s3, s23, s2
	s_mul_hi_u32 s23, s22, s2
	s_cselect_b64 s[26:27], -1, 0
	s_add_i32 s3, s23, s3
	s_mul_i32 s2, s22, s2
	s_mul_i32 s22, s21, s10
	s_mul_hi_u32 s23, s20, s10
	s_add_i32 s23, s23, s22
	s_mul_i32 s22, s20, s10
	s_lshl_b64 s[2:3], s[2:3], 3
	s_lshl_b64 s[22:23], s[22:23], 3
	s_add_u32 s22, s2, s22
	s_addc_u32 s23, s3, s23
	s_lshl_b64 s[2:3], s[18:19], 3
	s_add_u32 s2, s22, s2
	s_addc_u32 s3, s23, s3
	v_and_b32_e32 v2, 63, v0
	s_add_u32 s2, s16, s2
	v_mbcnt_lo_u32_b32 v8, -1, 0
	v_cmp_eq_u32_e64 s[4:5], 0, v2
	v_lshlrev_b32_e32 v2, 3, v0
	v_mov_b32_e32 v3, 0
	s_addc_u32 s3, s17, s3
	v_mbcnt_hi_u32_b32 v22, -1, v8
	v_mov_b32_e32 v8, 0x80
	v_cmp_gt_i32_e64 s[0:1], s12, v0
	v_lshrrev_b32_e32 v15, 3, v0
	v_cmp_eq_u32_e64 s[6:7], 0, v0
	v_lshl_add_u64 v[4:5], s[2:3], 0, v[2:3]
	s_lshl_b64 s[2:3], s[20:21], 9
	s_mov_b64 s[16:17], 0x2000
	v_mov_b32_e32 v2, 0x4008
	v_mov_b32_e32 v16, 0x4018
	;; [unrolled: 1-line block ×7, first 2 shown]
	s_mov_b64 s[18:19], 0x400
	v_mov_b64_e32 v[6:7], s[14:15]
	v_and_b32_e32 v23, 63, v22
	v_lshl_or_b32 v24, v22, 2, v8
	s_branch .LBB24_8
.LBB24_7:                               ;   in Loop: Header=BB24_8 Depth=1
	s_or_b64 exec, exec, s[14:15]
	s_add_u32 s10, s10, 64
	s_addc_u32 s11, s11, 0
	v_cmp_ge_i64_e32 vcc, s[10:11], v[6:7]
	v_lshl_add_u64 v[4:5], v[4:5], 0, s[2:3]
	s_cbranch_vccnz .LBB24_25
.LBB24_8:                               ; =>This Loop Header: Depth=1
                                        ;     Child Loop BB24_10 Depth 2
                                        ;     Child Loop BB24_24 Depth 2
	v_mov_b64_e32 v[8:9], 0
	s_and_saveexec_b64 s[14:15], s[0:1]
	s_cbranch_execz .LBB24_12
; %bb.9:                                ;   in Loop: Header=BB24_8 Depth=1
	v_mov_b64_e32 v[8:9], 0
	s_mov_b64 s[20:21], 0
	v_mov_b64_e32 v[10:11], v[4:5]
	v_mov_b32_e32 v12, v14
	v_mov_b32_e32 v13, v0
.LBB24_10:                              ;   Parent Loop BB24_8 Depth=1
                                        ; =>  This Inner Loop Header: Depth=2
	global_load_dwordx2 v[26:27], v[10:11], off
	ds_read_b64 v[28:29], v12
	v_add_u32_e32 v13, 0x400, v13
	v_cmp_le_i32_e32 vcc, s12, v13
	v_add_u32_e32 v12, 0x2000, v12
	v_lshl_add_u64 v[10:11], v[10:11], 0, s[16:17]
	s_or_b64 s[20:21], vcc, s[20:21]
	s_waitcnt vmcnt(0) lgkmcnt(0)
	v_fmac_f64_e32 v[8:9], v[28:29], v[26:27]
	s_andn2_b64 exec, exec, s[20:21]
	s_cbranch_execnz .LBB24_10
; %bb.11:                               ;   in Loop: Header=BB24_8 Depth=1
	s_or_b64 exec, exec, s[20:21]
.LBB24_12:                              ;   in Loop: Header=BB24_8 Depth=1
	s_or_b64 exec, exec, s[14:15]
	s_and_b64 vcc, exec, s[26:27]
	s_cbranch_vccz .LBB24_19
; %bb.13:                               ;   in Loop: Header=BB24_8 Depth=1
	v_cmp_ne_u32_e32 vcc, 63, v23
	s_nop 1
	v_addc_co_u32_e32 v10, vcc, 0, v22, vcc
	v_lshlrev_b32_e32 v11, 2, v10
	ds_bpermute_b32 v10, v11, v8
	ds_bpermute_b32 v11, v11, v9
	v_cmp_gt_u32_e32 vcc, 62, v23
	s_waitcnt lgkmcnt(0)
	v_add_f64 v[10:11], v[8:9], v[10:11]
	v_cndmask_b32_e64 v12, 0, 2, vcc
	v_add_lshl_u32 v13, v12, v22, 2
	ds_bpermute_b32 v12, v13, v10
	ds_bpermute_b32 v13, v13, v11
	v_cmp_gt_u32_e32 vcc, 60, v23
	s_waitcnt lgkmcnt(0)
	v_add_f64 v[10:11], v[10:11], v[12:13]
	v_cndmask_b32_e64 v12, 0, 4, vcc
	v_add_lshl_u32 v13, v12, v22, 2
	;; [unrolled: 7-line block ×4, first 2 shown]
	ds_bpermute_b32 v12, v13, v10
	ds_bpermute_b32 v13, v13, v11
	s_waitcnt lgkmcnt(0)
	v_add_f64 v[10:11], v[10:11], v[12:13]
	ds_bpermute_b32 v12, v24, v10
	ds_bpermute_b32 v13, v24, v11
	s_waitcnt lgkmcnt(0)
	v_add_f64 v[10:11], v[10:11], v[12:13]
	s_and_saveexec_b64 s[14:15], s[4:5]
; %bb.14:                               ;   in Loop: Header=BB24_8 Depth=1
	ds_write_b64 v15, v[10:11] offset:16384
; %bb.15:                               ;   in Loop: Header=BB24_8 Depth=1
	s_or_b64 exec, exec, s[14:15]
	s_mov_b64 s[20:21], 0
	s_mov_b64 s[14:15], 0
	s_waitcnt lgkmcnt(0)
	s_barrier
                                        ; implicit-def: $vgpr12_vgpr13
	s_and_saveexec_b64 s[22:23], s[6:7]
	s_xor_b64 s[22:23], exec, s[22:23]
	s_cbranch_execz .LBB24_17
; %bb.16:                               ;   in Loop: Header=BB24_8 Depth=1
	ds_read2_b64 v[26:29], v2 offset1:1
	ds_read2_b64 v[30:33], v16 offset1:1
	;; [unrolled: 1-line block ×4, first 2 shown]
	s_mov_b64 s[14:15], exec
	s_waitcnt lgkmcnt(3)
	v_add_f64 v[10:11], v[10:11], v[26:27]
	v_add_f64 v[10:11], v[10:11], v[28:29]
	s_waitcnt lgkmcnt(2)
	v_add_f64 v[10:11], v[10:11], v[30:31]
	v_add_f64 v[10:11], v[10:11], v[32:33]
	s_waitcnt lgkmcnt(1)
	v_add_f64 v[26:27], v[10:11], v[34:35]
	ds_read2_b64 v[10:13], v19 offset1:1
	v_add_f64 v[26:27], v[26:27], v[36:37]
	s_waitcnt lgkmcnt(1)
	v_add_f64 v[26:27], v[26:27], v[38:39]
	v_add_f64 v[30:31], v[26:27], v[40:41]
	ds_read2_b64 v[26:29], v20 offset1:1
	s_waitcnt lgkmcnt(1)
	v_add_f64 v[10:11], v[30:31], v[10:11]
	ds_read2_b64 v[30:33], v21 offset1:1
	v_add_f64 v[10:11], v[10:11], v[12:13]
	ds_read_b64 v[12:13], v3 offset:16504
	s_waitcnt lgkmcnt(2)
	v_add_f64 v[10:11], v[10:11], v[26:27]
	v_add_f64 v[10:11], v[10:11], v[28:29]
	s_waitcnt lgkmcnt(1)
	v_add_f64 v[10:11], v[10:11], v[30:31]
	v_add_f64 v[10:11], v[10:11], v[32:33]
	s_waitcnt lgkmcnt(0)
	v_add_f64 v[12:13], v[10:11], v[12:13]
.LBB24_17:                              ;   in Loop: Header=BB24_8 Depth=1
	s_or_b64 exec, exec, s[22:23]
	s_and_b64 vcc, exec, s[20:21]
	s_cbranch_vccnz .LBB24_20
.LBB24_18:                              ;   in Loop: Header=BB24_8 Depth=1
	v_mov_b64_e32 v[8:9], v[12:13]
	s_and_saveexec_b64 s[20:21], s[14:15]
	s_cbranch_execnz .LBB24_21
	s_branch .LBB24_22
.LBB24_19:                              ;   in Loop: Header=BB24_8 Depth=1
	s_mov_b64 s[14:15], 0
                                        ; implicit-def: $vgpr12_vgpr13
	s_cbranch_execz .LBB24_18
.LBB24_20:                              ;   in Loop: Header=BB24_8 Depth=1
	s_andn2_b64 s[14:15], s[14:15], exec
	s_and_b64 s[20:21], s[6:7], exec
	s_or_b64 s[14:15], s[14:15], s[20:21]
	s_and_saveexec_b64 s[20:21], s[14:15]
.LBB24_21:                              ;   in Loop: Header=BB24_8 Depth=1
	ds_write_b64 v3, v[8:9] offset:16384
.LBB24_22:                              ;   in Loop: Header=BB24_8 Depth=1
	s_or_b64 exec, exec, s[20:21]
	s_waitcnt lgkmcnt(0)
	s_barrier
	s_and_saveexec_b64 s[14:15], s[8:9]
	s_cbranch_execz .LBB24_7
; %bb.23:                               ;   in Loop: Header=BB24_8 Depth=1
	global_load_dwordx2 v[10:11], v3, s[24:25]
	ds_read_b64 v[12:13], v3 offset:16384
	s_mov_b64 s[20:21], 0
	v_mov_b64_e32 v[8:9], v[4:5]
	v_mov_b32_e32 v25, v14
	s_waitcnt vmcnt(0) lgkmcnt(0)
	v_mul_f64 v[10:11], v[12:13], -v[10:11]
	v_mov_b64_e32 v[12:13], v[0:1]
.LBB24_24:                              ;   Parent Loop BB24_8 Depth=1
                                        ; =>  This Inner Loop Header: Depth=2
	global_load_dwordx2 v[26:27], v[8:9], off
	ds_read_b64 v[28:29], v25
	v_lshl_add_u64 v[12:13], v[12:13], 0, s[18:19]
	v_cmp_le_i64_e32 vcc, s[12:13], v[12:13]
	v_add_u32_e32 v25, 0x2000, v25
	s_or_b64 s[20:21], vcc, s[20:21]
	s_waitcnt vmcnt(0) lgkmcnt(0)
	v_fmac_f64_e32 v[26:27], v[10:11], v[28:29]
	global_store_dwordx2 v[8:9], v[26:27], off
	v_lshl_add_u64 v[8:9], v[8:9], 0, s[16:17]
	s_andn2_b64 exec, exec, s[20:21]
	s_cbranch_execnz .LBB24_24
	s_branch .LBB24_7
.LBB24_25:
	s_endpgm
	.section	.rodata,"a",@progbits
	.p2align	6, 0x0
	.amdhsa_kernel _ZN9rocsolver6v33100L22larf_left_kernel_smallILi1024EdlPdEEvT1_S3_T2_lS3_lPKT0_lS4_lS3_l
		.amdhsa_group_segment_fixed_size 24576
		.amdhsa_private_segment_fixed_size 0
		.amdhsa_kernarg_size 96
		.amdhsa_user_sgpr_count 2
		.amdhsa_user_sgpr_dispatch_ptr 0
		.amdhsa_user_sgpr_queue_ptr 0
		.amdhsa_user_sgpr_kernarg_segment_ptr 1
		.amdhsa_user_sgpr_dispatch_id 0
		.amdhsa_user_sgpr_kernarg_preload_length 0
		.amdhsa_user_sgpr_kernarg_preload_offset 0
		.amdhsa_user_sgpr_private_segment_size 0
		.amdhsa_uses_dynamic_stack 0
		.amdhsa_enable_private_segment 0
		.amdhsa_system_sgpr_workgroup_id_x 1
		.amdhsa_system_sgpr_workgroup_id_y 1
		.amdhsa_system_sgpr_workgroup_id_z 0
		.amdhsa_system_sgpr_workgroup_info 0
		.amdhsa_system_vgpr_workitem_id 0
		.amdhsa_next_free_vgpr 42
		.amdhsa_next_free_sgpr 30
		.amdhsa_accum_offset 44
		.amdhsa_reserve_vcc 1
		.amdhsa_float_round_mode_32 0
		.amdhsa_float_round_mode_16_64 0
		.amdhsa_float_denorm_mode_32 3
		.amdhsa_float_denorm_mode_16_64 3
		.amdhsa_dx10_clamp 1
		.amdhsa_ieee_mode 1
		.amdhsa_fp16_overflow 0
		.amdhsa_tg_split 0
		.amdhsa_exception_fp_ieee_invalid_op 0
		.amdhsa_exception_fp_denorm_src 0
		.amdhsa_exception_fp_ieee_div_zero 0
		.amdhsa_exception_fp_ieee_overflow 0
		.amdhsa_exception_fp_ieee_underflow 0
		.amdhsa_exception_fp_ieee_inexact 0
		.amdhsa_exception_int_div_zero 0
	.end_amdhsa_kernel
	.section	.text._ZN9rocsolver6v33100L22larf_left_kernel_smallILi1024EdlPdEEvT1_S3_T2_lS3_lPKT0_lS4_lS3_l,"axG",@progbits,_ZN9rocsolver6v33100L22larf_left_kernel_smallILi1024EdlPdEEvT1_S3_T2_lS3_lPKT0_lS4_lS3_l,comdat
.Lfunc_end24:
	.size	_ZN9rocsolver6v33100L22larf_left_kernel_smallILi1024EdlPdEEvT1_S3_T2_lS3_lPKT0_lS4_lS3_l, .Lfunc_end24-_ZN9rocsolver6v33100L22larf_left_kernel_smallILi1024EdlPdEEvT1_S3_T2_lS3_lPKT0_lS4_lS3_l
                                        ; -- End function
	.set _ZN9rocsolver6v33100L22larf_left_kernel_smallILi1024EdlPdEEvT1_S3_T2_lS3_lPKT0_lS4_lS3_l.num_vgpr, 42
	.set _ZN9rocsolver6v33100L22larf_left_kernel_smallILi1024EdlPdEEvT1_S3_T2_lS3_lPKT0_lS4_lS3_l.num_agpr, 0
	.set _ZN9rocsolver6v33100L22larf_left_kernel_smallILi1024EdlPdEEvT1_S3_T2_lS3_lPKT0_lS4_lS3_l.numbered_sgpr, 30
	.set _ZN9rocsolver6v33100L22larf_left_kernel_smallILi1024EdlPdEEvT1_S3_T2_lS3_lPKT0_lS4_lS3_l.num_named_barrier, 0
	.set _ZN9rocsolver6v33100L22larf_left_kernel_smallILi1024EdlPdEEvT1_S3_T2_lS3_lPKT0_lS4_lS3_l.private_seg_size, 0
	.set _ZN9rocsolver6v33100L22larf_left_kernel_smallILi1024EdlPdEEvT1_S3_T2_lS3_lPKT0_lS4_lS3_l.uses_vcc, 1
	.set _ZN9rocsolver6v33100L22larf_left_kernel_smallILi1024EdlPdEEvT1_S3_T2_lS3_lPKT0_lS4_lS3_l.uses_flat_scratch, 0
	.set _ZN9rocsolver6v33100L22larf_left_kernel_smallILi1024EdlPdEEvT1_S3_T2_lS3_lPKT0_lS4_lS3_l.has_dyn_sized_stack, 0
	.set _ZN9rocsolver6v33100L22larf_left_kernel_smallILi1024EdlPdEEvT1_S3_T2_lS3_lPKT0_lS4_lS3_l.has_recursion, 0
	.set _ZN9rocsolver6v33100L22larf_left_kernel_smallILi1024EdlPdEEvT1_S3_T2_lS3_lPKT0_lS4_lS3_l.has_indirect_call, 0
	.section	.AMDGPU.csdata,"",@progbits
; Kernel info:
; codeLenInByte = 1444
; TotalNumSgprs: 36
; NumVgprs: 42
; NumAgprs: 0
; TotalNumVgprs: 42
; ScratchSize: 0
; MemoryBound: 0
; FloatMode: 240
; IeeeMode: 1
; LDSByteSize: 24576 bytes/workgroup (compile time only)
; SGPRBlocks: 4
; VGPRBlocks: 5
; NumSGPRsForWavesPerEU: 36
; NumVGPRsForWavesPerEU: 42
; AccumOffset: 44
; Occupancy: 8
; WaveLimiterHint : 0
; COMPUTE_PGM_RSRC2:SCRATCH_EN: 0
; COMPUTE_PGM_RSRC2:USER_SGPR: 2
; COMPUTE_PGM_RSRC2:TRAP_HANDLER: 0
; COMPUTE_PGM_RSRC2:TGID_X_EN: 1
; COMPUTE_PGM_RSRC2:TGID_Y_EN: 1
; COMPUTE_PGM_RSRC2:TGID_Z_EN: 0
; COMPUTE_PGM_RSRC2:TIDIG_COMP_CNT: 0
; COMPUTE_PGM_RSRC3_GFX90A:ACCUM_OFFSET: 10
; COMPUTE_PGM_RSRC3_GFX90A:TG_SPLIT: 0
	.section	.text._ZN9rocsolver6v33100L23larf_right_kernel_smallILi64EdlPdEEvT1_S3_T2_lS3_lPKT0_lS4_lS3_l,"axG",@progbits,_ZN9rocsolver6v33100L23larf_right_kernel_smallILi64EdlPdEEvT1_S3_T2_lS3_lPKT0_lS4_lS3_l,comdat
	.globl	_ZN9rocsolver6v33100L23larf_right_kernel_smallILi64EdlPdEEvT1_S3_T2_lS3_lPKT0_lS4_lS3_l ; -- Begin function _ZN9rocsolver6v33100L23larf_right_kernel_smallILi64EdlPdEEvT1_S3_T2_lS3_lPKT0_lS4_lS3_l
	.p2align	8
	.type	_ZN9rocsolver6v33100L23larf_right_kernel_smallILi64EdlPdEEvT1_S3_T2_lS3_lPKT0_lS4_lS3_l,@function
_ZN9rocsolver6v33100L23larf_right_kernel_smallILi64EdlPdEEvT1_S3_T2_lS3_lPKT0_lS4_lS3_l: ; @_ZN9rocsolver6v33100L23larf_right_kernel_smallILi64EdlPdEEvT1_S3_T2_lS3_lPKT0_lS4_lS3_l
; %bb.0:
	s_load_dwordx16 s[8:23], s[0:1], 0x0
	s_mov_b32 s6, s3
	s_mov_b64 s[26:27], 0
	s_waitcnt lgkmcnt(0)
	v_cmp_gt_i64_e64 s[4:5], s[16:17], 0
	s_and_b64 vcc, exec, s[4:5]
	s_cbranch_vccnz .LBB25_2
; %bb.1:
	s_sub_u32 s3, 1, s10
	s_subb_u32 s4, 0, s11
	s_mul_i32 s4, s16, s4
	s_mul_hi_u32 s5, s16, s3
	s_add_i32 s4, s5, s4
	s_mul_i32 s5, s17, s3
	s_add_i32 s27, s4, s5
	s_mul_i32 s26, s16, s3
.LBB25_2:
	v_mov_b32_e32 v1, 0
	v_cmp_gt_i64_e64 s[4:5], s[10:11], v[0:1]
	v_lshlrev_b32_e32 v12, 3, v0
	s_and_saveexec_b64 s[24:25], s[4:5]
	s_cbranch_execz .LBB25_5
; %bb.3:
	s_mul_i32 s3, s19, s2
	s_mul_hi_u32 s7, s18, s2
	s_add_i32 s19, s7, s3
	s_mul_i32 s18, s18, s2
	s_lshl_b64 s[18:19], s[18:19], 3
	s_lshl_b64 s[26:27], s[26:27], 3
	;; [unrolled: 1-line block ×3, first 2 shown]
	s_add_u32 s3, s12, s14
	s_addc_u32 s7, s13, s15
	v_mad_u64_u32 v[2:3], s[28:29], s16, v0, 0
	s_add_u32 s3, s3, s26
	v_mov_b32_e32 v4, v3
	s_addc_u32 s7, s7, s27
	v_mad_u64_u32 v[4:5], s[28:29], s17, v0, v[4:5]
	s_add_u32 s12, s3, s18
	v_mov_b32_e32 v3, v4
	s_addc_u32 s13, s7, s19
	v_lshl_add_u64 v[2:3], v[2:3], 3, s[12:13]
	s_lshl_b64 s[12:13], s[16:17], 9
	v_lshlrev_b32_e32 v6, 3, v0
	s_mov_b64 s[14:15], 0
	v_mov_b64_e32 v[4:5], v[0:1]
.LBB25_4:                               ; =>This Inner Loop Header: Depth=1
	global_load_dwordx2 v[8:9], v[2:3], off
	v_lshl_add_u64 v[4:5], v[4:5], 0, 64
	v_cmp_le_i64_e32 vcc, s[10:11], v[4:5]
	v_lshl_add_u64 v[2:3], v[2:3], 0, s[12:13]
	s_or_b64 s[14:15], vcc, s[14:15]
	s_waitcnt vmcnt(0)
	ds_write_b64 v6, v[8:9]
	v_add_u32_e32 v6, 0x200, v6
	s_andn2_b64 exec, exec, s[14:15]
	s_cbranch_execnz .LBB25_4
.LBB25_5:
	s_or_b64 exec, exec, s[24:25]
	s_mov_b32 s7, 0
	v_mov_b64_e32 v[2:3], s[6:7]
	v_cmp_le_i64_e32 vcc, s[8:9], v[2:3]
	s_waitcnt lgkmcnt(0)
	; wave barrier
	s_cbranch_vccnz .LBB25_23
; %bb.6:
	s_load_dwordx8 s[12:19], s[0:1], 0x40
	s_mul_i32 s3, s23, s2
	v_mbcnt_lo_u32_b32 v6, -1, 0
	v_mbcnt_hi_u32_b32 v16, -1, v6
	v_mov_b32_e32 v6, 0x80
	s_waitcnt lgkmcnt(0)
	s_mul_i32 s1, s19, s2
	s_mul_hi_u32 s19, s18, s2
	s_mul_i32 s0, s18, s2
	s_add_i32 s1, s19, s1
	s_lshl_b64 s[28:29], s[0:1], 3
	s_add_u32 s0, s12, s28
	s_addc_u32 s1, s13, s29
	s_lshl_b64 s[30:31], s[14:15], 3
	s_add_u32 s24, s0, s30
	s_mul_hi_u32 s0, s22, s2
	s_addc_u32 s25, s1, s31
	s_add_i32 s1, s0, s3
	s_mul_i32 s0, s22, s2
	s_lshl_b64 s[0:1], s[0:1], 3
	s_add_u32 s0, s20, s0
	s_addc_u32 s1, s21, s1
	v_mad_u64_u32 v[2:3], s[20:21], s16, v0, 0
	v_mov_b32_e32 v4, v3
	s_cmp_gt_i32 s10, 1
	v_mad_u64_u32 v[4:5], s[20:21], s17, v0, v[4:5]
	s_cselect_b64 s[14:15], -1, 0
	s_lshl_b32 s26, s16, 6
	s_lshl_b64 s[20:21], s[6:7], 3
	s_add_u32 s12, s12, s20
	s_addc_u32 s13, s13, s21
	s_add_u32 s12, s12, s30
	s_addc_u32 s13, s13, s31
	s_add_u32 s12, s12, s28
	v_mov_b32_e32 v3, v4
	s_addc_u32 s13, s13, s29
	v_cmp_gt_i32_e64 s[2:3], s10, v0
	v_cmp_eq_u32_e64 s[18:19], 0, v0
	v_lshrrev_b32_e32 v13, 3, v0
	v_mul_lo_u32 v14, v0, s16
	v_lshl_add_u64 v[2:3], v[2:3], 3, s[12:13]
	s_lshl_b64 s[12:13], s[16:17], 9
	v_mov_b32_e32 v15, 0
	s_mov_b64 s[16:17], 0x200
	v_mov_b64_e32 v[4:5], s[8:9]
	v_and_b32_e32 v17, 63, v16
	v_lshl_or_b32 v18, v16, 2, v6
	s_branch .LBB25_8
.LBB25_7:                               ;   in Loop: Header=BB25_8 Depth=1
	s_or_b64 exec, exec, s[8:9]
	s_add_u32 s6, s6, 64
	s_addc_u32 s7, s7, 0
	v_cmp_ge_i64_e32 vcc, s[6:7], v[4:5]
	v_lshl_add_u64 v[2:3], v[2:3], 0, s[16:17]
	s_cbranch_vccnz .LBB25_23
.LBB25_8:                               ; =>This Loop Header: Depth=1
                                        ;     Child Loop BB25_10 Depth 2
                                        ;     Child Loop BB25_22 Depth 2
	v_mov_b64_e32 v[6:7], 0
	s_and_saveexec_b64 s[8:9], s[2:3]
	s_cbranch_execz .LBB25_12
; %bb.9:                                ;   in Loop: Header=BB25_8 Depth=1
	s_lshl_b64 s[20:21], s[6:7], 3
	s_add_u32 s20, s24, s20
	s_addc_u32 s21, s25, s21
	v_mov_b64_e32 v[6:7], 0
	s_mov_b64 s[22:23], 0
	v_mov_b32_e32 v8, v14
	v_mov_b32_e32 v10, v12
	;; [unrolled: 1-line block ×3, first 2 shown]
.LBB25_10:                              ;   Parent Loop BB25_8 Depth=1
                                        ; =>  This Inner Loop Header: Depth=2
	v_ashrrev_i32_e32 v9, 31, v8
	v_lshl_add_u64 v[20:21], v[8:9], 3, s[20:21]
	global_load_dwordx2 v[20:21], v[20:21], off
	ds_read_b64 v[22:23], v10
	v_add_u32_e32 v11, 64, v11
	v_cmp_le_i32_e32 vcc, s10, v11
	v_add_u32_e32 v10, 0x200, v10
	v_add_u32_e32 v8, s26, v8
	s_or_b64 s[22:23], vcc, s[22:23]
	s_waitcnt vmcnt(0) lgkmcnt(0)
	v_fmac_f64_e32 v[6:7], v[22:23], v[20:21]
	s_andn2_b64 exec, exec, s[22:23]
	s_cbranch_execnz .LBB25_10
; %bb.11:                               ;   in Loop: Header=BB25_8 Depth=1
	s_or_b64 exec, exec, s[22:23]
.LBB25_12:                              ;   in Loop: Header=BB25_8 Depth=1
	s_or_b64 exec, exec, s[8:9]
	s_and_b64 vcc, exec, s[14:15]
	s_cbranch_vccz .LBB25_17
; %bb.13:                               ;   in Loop: Header=BB25_8 Depth=1
	v_cmp_ne_u32_e32 vcc, 63, v17
	s_nop 1
	v_addc_co_u32_e32 v8, vcc, 0, v16, vcc
	v_lshlrev_b32_e32 v9, 2, v8
	ds_bpermute_b32 v8, v9, v6
	ds_bpermute_b32 v9, v9, v7
	v_cmp_gt_u32_e32 vcc, 62, v17
	s_waitcnt lgkmcnt(0)
	v_add_f64 v[8:9], v[6:7], v[8:9]
	v_cndmask_b32_e64 v10, 0, 2, vcc
	v_add_lshl_u32 v11, v10, v16, 2
	ds_bpermute_b32 v10, v11, v8
	ds_bpermute_b32 v11, v11, v9
	v_cmp_gt_u32_e32 vcc, 60, v17
	s_waitcnt lgkmcnt(0)
	v_add_f64 v[8:9], v[8:9], v[10:11]
	v_cndmask_b32_e64 v10, 0, 4, vcc
	v_add_lshl_u32 v11, v10, v16, 2
	ds_bpermute_b32 v10, v11, v8
	ds_bpermute_b32 v11, v11, v9
	v_cmp_gt_u32_e32 vcc, 56, v17
	s_waitcnt lgkmcnt(0)
	v_add_f64 v[8:9], v[8:9], v[10:11]
	v_cndmask_b32_e64 v10, 0, 8, vcc
	v_add_lshl_u32 v11, v10, v16, 2
	ds_bpermute_b32 v10, v11, v8
	ds_bpermute_b32 v11, v11, v9
	v_cmp_gt_u32_e32 vcc, 48, v17
	s_waitcnt lgkmcnt(0)
	v_add_f64 v[8:9], v[8:9], v[10:11]
	v_cndmask_b32_e64 v10, 0, 16, vcc
	v_add_lshl_u32 v11, v10, v16, 2
	ds_bpermute_b32 v10, v11, v8
	ds_bpermute_b32 v11, v11, v9
	s_waitcnt lgkmcnt(0)
	v_add_f64 v[8:9], v[8:9], v[10:11]
	ds_bpermute_b32 v10, v18, v8
	ds_bpermute_b32 v11, v18, v9
	s_waitcnt lgkmcnt(0)
	v_add_f64 v[8:9], v[8:9], v[10:11]
	s_and_saveexec_b64 s[8:9], s[18:19]
; %bb.14:                               ;   in Loop: Header=BB25_8 Depth=1
	ds_write_b64 v13, v[8:9] offset:16384
; %bb.15:                               ;   in Loop: Header=BB25_8 Depth=1
	s_or_b64 exec, exec, s[8:9]
	s_waitcnt lgkmcnt(0)
	; wave barrier
	s_mov_b64 s[8:9], s[18:19]
.LBB25_16:                              ;   in Loop: Header=BB25_8 Depth=1
	v_mov_b64_e32 v[6:7], v[8:9]
	s_and_saveexec_b64 s[20:21], s[8:9]
	s_cbranch_execnz .LBB25_19
	s_branch .LBB25_20
.LBB25_17:                              ;   in Loop: Header=BB25_8 Depth=1
	s_mov_b64 s[8:9], 0
                                        ; implicit-def: $vgpr8_vgpr9
	s_cbranch_execz .LBB25_16
; %bb.18:                               ;   in Loop: Header=BB25_8 Depth=1
	s_andn2_b64 s[8:9], s[8:9], exec
	s_and_b64 s[20:21], s[18:19], exec
	s_or_b64 s[8:9], s[8:9], s[20:21]
	s_and_saveexec_b64 s[20:21], s[8:9]
.LBB25_19:                              ;   in Loop: Header=BB25_8 Depth=1
	ds_write_b64 v15, v[6:7] offset:16384
.LBB25_20:                              ;   in Loop: Header=BB25_8 Depth=1
	s_or_b64 exec, exec, s[20:21]
	s_waitcnt lgkmcnt(0)
	; wave barrier
	s_and_saveexec_b64 s[8:9], s[4:5]
	s_cbranch_execz .LBB25_7
; %bb.21:                               ;   in Loop: Header=BB25_8 Depth=1
	global_load_dwordx2 v[8:9], v15, s[0:1]
	ds_read_b64 v[10:11], v15 offset:16384
	s_mov_b64 s[20:21], 0
	v_mov_b32_e32 v19, v12
	v_mov_b64_e32 v[6:7], v[2:3]
	s_waitcnt vmcnt(0) lgkmcnt(0)
	v_mul_f64 v[8:9], v[10:11], -v[8:9]
	v_mov_b64_e32 v[10:11], v[0:1]
.LBB25_22:                              ;   Parent Loop BB25_8 Depth=1
                                        ; =>  This Inner Loop Header: Depth=2
	global_load_dwordx2 v[20:21], v[6:7], off
	ds_read_b64 v[22:23], v19
	v_lshl_add_u64 v[10:11], v[10:11], 0, 64
	v_cmp_le_i64_e32 vcc, s[10:11], v[10:11]
	s_or_b64 s[20:21], vcc, s[20:21]
	v_add_u32_e32 v19, 0x200, v19
	s_waitcnt vmcnt(0) lgkmcnt(0)
	v_fmac_f64_e32 v[20:21], v[8:9], v[22:23]
	global_store_dwordx2 v[6:7], v[20:21], off
	v_lshl_add_u64 v[6:7], v[6:7], 0, s[12:13]
	s_andn2_b64 exec, exec, s[20:21]
	s_cbranch_execnz .LBB25_22
	s_branch .LBB25_7
.LBB25_23:
	s_endpgm
	.section	.rodata,"a",@progbits
	.p2align	6, 0x0
	.amdhsa_kernel _ZN9rocsolver6v33100L23larf_right_kernel_smallILi64EdlPdEEvT1_S3_T2_lS3_lPKT0_lS4_lS3_l
		.amdhsa_group_segment_fixed_size 16392
		.amdhsa_private_segment_fixed_size 0
		.amdhsa_kernarg_size 96
		.amdhsa_user_sgpr_count 2
		.amdhsa_user_sgpr_dispatch_ptr 0
		.amdhsa_user_sgpr_queue_ptr 0
		.amdhsa_user_sgpr_kernarg_segment_ptr 1
		.amdhsa_user_sgpr_dispatch_id 0
		.amdhsa_user_sgpr_kernarg_preload_length 0
		.amdhsa_user_sgpr_kernarg_preload_offset 0
		.amdhsa_user_sgpr_private_segment_size 0
		.amdhsa_uses_dynamic_stack 0
		.amdhsa_enable_private_segment 0
		.amdhsa_system_sgpr_workgroup_id_x 1
		.amdhsa_system_sgpr_workgroup_id_y 1
		.amdhsa_system_sgpr_workgroup_id_z 0
		.amdhsa_system_sgpr_workgroup_info 0
		.amdhsa_system_vgpr_workitem_id 0
		.amdhsa_next_free_vgpr 129
		.amdhsa_next_free_sgpr 96
		.amdhsa_accum_offset 24
		.amdhsa_reserve_vcc 1
		.amdhsa_float_round_mode_32 0
		.amdhsa_float_round_mode_16_64 0
		.amdhsa_float_denorm_mode_32 3
		.amdhsa_float_denorm_mode_16_64 3
		.amdhsa_dx10_clamp 1
		.amdhsa_ieee_mode 1
		.amdhsa_fp16_overflow 0
		.amdhsa_tg_split 0
		.amdhsa_exception_fp_ieee_invalid_op 0
		.amdhsa_exception_fp_denorm_src 0
		.amdhsa_exception_fp_ieee_div_zero 0
		.amdhsa_exception_fp_ieee_overflow 0
		.amdhsa_exception_fp_ieee_underflow 0
		.amdhsa_exception_fp_ieee_inexact 0
		.amdhsa_exception_int_div_zero 0
	.end_amdhsa_kernel
	.section	.text._ZN9rocsolver6v33100L23larf_right_kernel_smallILi64EdlPdEEvT1_S3_T2_lS3_lPKT0_lS4_lS3_l,"axG",@progbits,_ZN9rocsolver6v33100L23larf_right_kernel_smallILi64EdlPdEEvT1_S3_T2_lS3_lPKT0_lS4_lS3_l,comdat
.Lfunc_end25:
	.size	_ZN9rocsolver6v33100L23larf_right_kernel_smallILi64EdlPdEEvT1_S3_T2_lS3_lPKT0_lS4_lS3_l, .Lfunc_end25-_ZN9rocsolver6v33100L23larf_right_kernel_smallILi64EdlPdEEvT1_S3_T2_lS3_lPKT0_lS4_lS3_l
                                        ; -- End function
	.set _ZN9rocsolver6v33100L23larf_right_kernel_smallILi64EdlPdEEvT1_S3_T2_lS3_lPKT0_lS4_lS3_l.num_vgpr, 24
	.set _ZN9rocsolver6v33100L23larf_right_kernel_smallILi64EdlPdEEvT1_S3_T2_lS3_lPKT0_lS4_lS3_l.num_agpr, 0
	.set _ZN9rocsolver6v33100L23larf_right_kernel_smallILi64EdlPdEEvT1_S3_T2_lS3_lPKT0_lS4_lS3_l.numbered_sgpr, 32
	.set _ZN9rocsolver6v33100L23larf_right_kernel_smallILi64EdlPdEEvT1_S3_T2_lS3_lPKT0_lS4_lS3_l.num_named_barrier, 0
	.set _ZN9rocsolver6v33100L23larf_right_kernel_smallILi64EdlPdEEvT1_S3_T2_lS3_lPKT0_lS4_lS3_l.private_seg_size, 0
	.set _ZN9rocsolver6v33100L23larf_right_kernel_smallILi64EdlPdEEvT1_S3_T2_lS3_lPKT0_lS4_lS3_l.uses_vcc, 1
	.set _ZN9rocsolver6v33100L23larf_right_kernel_smallILi64EdlPdEEvT1_S3_T2_lS3_lPKT0_lS4_lS3_l.uses_flat_scratch, 0
	.set _ZN9rocsolver6v33100L23larf_right_kernel_smallILi64EdlPdEEvT1_S3_T2_lS3_lPKT0_lS4_lS3_l.has_dyn_sized_stack, 0
	.set _ZN9rocsolver6v33100L23larf_right_kernel_smallILi64EdlPdEEvT1_S3_T2_lS3_lPKT0_lS4_lS3_l.has_recursion, 0
	.set _ZN9rocsolver6v33100L23larf_right_kernel_smallILi64EdlPdEEvT1_S3_T2_lS3_lPKT0_lS4_lS3_l.has_indirect_call, 0
	.section	.AMDGPU.csdata,"",@progbits
; Kernel info:
; codeLenInByte = 1148
; TotalNumSgprs: 38
; NumVgprs: 24
; NumAgprs: 0
; TotalNumVgprs: 24
; ScratchSize: 0
; MemoryBound: 0
; FloatMode: 240
; IeeeMode: 1
; LDSByteSize: 16392 bytes/workgroup (compile time only)
; SGPRBlocks: 12
; VGPRBlocks: 16
; NumSGPRsForWavesPerEU: 102
; NumVGPRsForWavesPerEU: 129
; AccumOffset: 24
; Occupancy: 3
; WaveLimiterHint : 0
; COMPUTE_PGM_RSRC2:SCRATCH_EN: 0
; COMPUTE_PGM_RSRC2:USER_SGPR: 2
; COMPUTE_PGM_RSRC2:TRAP_HANDLER: 0
; COMPUTE_PGM_RSRC2:TGID_X_EN: 1
; COMPUTE_PGM_RSRC2:TGID_Y_EN: 1
; COMPUTE_PGM_RSRC2:TGID_Z_EN: 0
; COMPUTE_PGM_RSRC2:TIDIG_COMP_CNT: 0
; COMPUTE_PGM_RSRC3_GFX90A:ACCUM_OFFSET: 5
; COMPUTE_PGM_RSRC3_GFX90A:TG_SPLIT: 0
	.section	.text._ZN9rocsolver6v33100L23larf_right_kernel_smallILi128EdlPdEEvT1_S3_T2_lS3_lPKT0_lS4_lS3_l,"axG",@progbits,_ZN9rocsolver6v33100L23larf_right_kernel_smallILi128EdlPdEEvT1_S3_T2_lS3_lPKT0_lS4_lS3_l,comdat
	.globl	_ZN9rocsolver6v33100L23larf_right_kernel_smallILi128EdlPdEEvT1_S3_T2_lS3_lPKT0_lS4_lS3_l ; -- Begin function _ZN9rocsolver6v33100L23larf_right_kernel_smallILi128EdlPdEEvT1_S3_T2_lS3_lPKT0_lS4_lS3_l
	.p2align	8
	.type	_ZN9rocsolver6v33100L23larf_right_kernel_smallILi128EdlPdEEvT1_S3_T2_lS3_lPKT0_lS4_lS3_l,@function
_ZN9rocsolver6v33100L23larf_right_kernel_smallILi128EdlPdEEvT1_S3_T2_lS3_lPKT0_lS4_lS3_l: ; @_ZN9rocsolver6v33100L23larf_right_kernel_smallILi128EdlPdEEvT1_S3_T2_lS3_lPKT0_lS4_lS3_l
; %bb.0:
	s_load_dwordx16 s[12:27], s[0:1], 0x0
	s_mov_b32 s10, s3
	s_mov_b64 s[6:7], 0
	s_waitcnt lgkmcnt(0)
	v_cmp_gt_i64_e64 s[4:5], s[20:21], 0
	s_and_b64 vcc, exec, s[4:5]
	s_cbranch_vccnz .LBB26_2
; %bb.1:
	s_sub_u32 s3, 1, s14
	s_subb_u32 s4, 0, s15
	s_mul_i32 s4, s20, s4
	s_mul_hi_u32 s5, s20, s3
	s_add_i32 s4, s5, s4
	s_mul_i32 s5, s21, s3
	s_add_i32 s7, s4, s5
	s_mul_i32 s6, s20, s3
.LBB26_2:
	v_mov_b32_e32 v1, 0
	v_cmp_gt_i64_e64 s[8:9], s[14:15], v[0:1]
	v_lshlrev_b32_e32 v12, 3, v0
	s_and_saveexec_b64 s[4:5], s[8:9]
	s_cbranch_execz .LBB26_5
; %bb.3:
	s_mul_i32 s3, s23, s2
	s_mul_hi_u32 s11, s22, s2
	s_add_i32 s23, s11, s3
	s_mul_i32 s22, s22, s2
	s_lshl_b64 s[22:23], s[22:23], 3
	s_lshl_b64 s[6:7], s[6:7], 3
	s_lshl_b64 s[18:19], s[18:19], 3
	s_add_u32 s3, s16, s18
	s_addc_u32 s11, s17, s19
	v_mad_u64_u32 v[2:3], s[28:29], s20, v0, 0
	s_add_u32 s3, s3, s6
	v_mov_b32_e32 v4, v3
	s_addc_u32 s7, s11, s7
	v_mad_u64_u32 v[4:5], s[28:29], s21, v0, v[4:5]
	s_add_u32 s6, s3, s22
	v_mov_b32_e32 v3, v4
	s_addc_u32 s7, s7, s23
	v_lshl_add_u64 v[2:3], v[2:3], 3, s[6:7]
	s_lshl_b64 s[6:7], s[20:21], 10
	v_lshlrev_b32_e32 v6, 3, v0
	s_mov_b64 s[16:17], 0
	s_mov_b64 s[18:19], 0x80
	v_mov_b64_e32 v[4:5], v[0:1]
.LBB26_4:                               ; =>This Inner Loop Header: Depth=1
	global_load_dwordx2 v[8:9], v[2:3], off
	v_lshl_add_u64 v[4:5], v[4:5], 0, s[18:19]
	v_cmp_le_i64_e32 vcc, s[14:15], v[4:5]
	v_lshl_add_u64 v[2:3], v[2:3], 0, s[6:7]
	s_or_b64 s[16:17], vcc, s[16:17]
	s_waitcnt vmcnt(0)
	ds_write_b64 v6, v[8:9]
	v_add_u32_e32 v6, 0x400, v6
	s_andn2_b64 exec, exec, s[16:17]
	s_cbranch_execnz .LBB26_4
.LBB26_5:
	s_or_b64 exec, exec, s[4:5]
	s_mov_b32 s11, 0
	v_mov_b64_e32 v[2:3], s[10:11]
	v_cmp_le_i64_e32 vcc, s[12:13], v[2:3]
	s_waitcnt lgkmcnt(0)
	s_barrier
	s_cbranch_vccnz .LBB26_25
; %bb.6:
	s_load_dwordx8 s[16:23], s[0:1], 0x40
	s_mul_i32 s3, s27, s2
	v_and_b32_e32 v2, 63, v0
	v_mbcnt_lo_u32_b32 v6, -1, 0
	v_mbcnt_hi_u32_b32 v16, -1, v6
	s_waitcnt lgkmcnt(0)
	s_mul_i32 s1, s23, s2
	s_mul_hi_u32 s4, s22, s2
	s_mul_i32 s0, s22, s2
	s_add_i32 s1, s4, s1
	s_lshl_b64 s[22:23], s[0:1], 3
	s_add_u32 s0, s16, s22
	s_addc_u32 s1, s17, s23
	s_lshl_b64 s[34:35], s[18:19], 3
	s_add_u32 s28, s0, s34
	s_mul_hi_u32 s0, s26, s2
	s_addc_u32 s29, s1, s35
	s_add_i32 s1, s0, s3
	s_mul_i32 s0, s26, s2
	s_lshl_b64 s[0:1], s[0:1], 3
	s_add_u32 s0, s24, s0
	s_addc_u32 s1, s25, s1
	v_cmp_eq_u32_e64 s[4:5], 0, v2
	v_mad_u64_u32 v[2:3], s[24:25], s20, v0, 0
	v_mov_b32_e32 v4, v3
	s_cmp_gt_i32 s14, 1
	v_mad_u64_u32 v[4:5], s[24:25], s21, v0, v[4:5]
	s_cselect_b64 s[18:19], -1, 0
	s_lshl_b32 s30, s20, 7
	s_lshl_b64 s[24:25], s[10:11], 3
	s_add_u32 s16, s16, s24
	s_addc_u32 s17, s17, s25
	s_add_u32 s16, s16, s34
	s_addc_u32 s17, s17, s35
	s_add_u32 s16, s16, s22
	v_mov_b32_e32 v3, v4
	s_addc_u32 s17, s17, s23
	v_mov_b32_e32 v6, 0x80
	v_cmp_gt_i32_e64 s[2:3], s14, v0
	v_lshrrev_b32_e32 v13, 3, v0
	v_cmp_eq_u32_e64 s[6:7], 0, v0
	v_mul_lo_u32 v14, v0, s20
	v_lshl_add_u64 v[2:3], v[2:3], 3, s[16:17]
	s_lshl_b64 s[16:17], s[20:21], 10
	v_mov_b32_e32 v15, 0
	s_mov_b64 s[20:21], 0x80
	s_mov_b64 s[22:23], 0x200
	v_mov_b64_e32 v[4:5], s[12:13]
	v_and_b32_e32 v17, 63, v16
	v_lshl_or_b32 v18, v16, 2, v6
	s_branch .LBB26_8
.LBB26_7:                               ;   in Loop: Header=BB26_8 Depth=1
	s_or_b64 exec, exec, s[12:13]
	s_add_u32 s10, s10, 64
	s_addc_u32 s11, s11, 0
	v_cmp_ge_i64_e32 vcc, s[10:11], v[4:5]
	v_lshl_add_u64 v[2:3], v[2:3], 0, s[22:23]
	s_cbranch_vccnz .LBB26_25
.LBB26_8:                               ; =>This Loop Header: Depth=1
                                        ;     Child Loop BB26_10 Depth 2
                                        ;     Child Loop BB26_24 Depth 2
	v_mov_b64_e32 v[6:7], 0
	s_and_saveexec_b64 s[12:13], s[2:3]
	s_cbranch_execz .LBB26_12
; %bb.9:                                ;   in Loop: Header=BB26_8 Depth=1
	s_lshl_b64 s[24:25], s[10:11], 3
	s_add_u32 s24, s28, s24
	s_addc_u32 s25, s29, s25
	v_mov_b64_e32 v[6:7], 0
	s_mov_b64 s[26:27], 0
	v_mov_b32_e32 v8, v14
	v_mov_b32_e32 v10, v12
	v_mov_b32_e32 v11, v0
.LBB26_10:                              ;   Parent Loop BB26_8 Depth=1
                                        ; =>  This Inner Loop Header: Depth=2
	v_ashrrev_i32_e32 v9, 31, v8
	v_lshl_add_u64 v[20:21], v[8:9], 3, s[24:25]
	global_load_dwordx2 v[20:21], v[20:21], off
	ds_read_b64 v[22:23], v10
	v_add_u32_e32 v11, 0x80, v11
	v_cmp_le_i32_e32 vcc, s14, v11
	v_add_u32_e32 v10, 0x400, v10
	v_add_u32_e32 v8, s30, v8
	s_or_b64 s[26:27], vcc, s[26:27]
	s_waitcnt vmcnt(0) lgkmcnt(0)
	v_fmac_f64_e32 v[6:7], v[22:23], v[20:21]
	s_andn2_b64 exec, exec, s[26:27]
	s_cbranch_execnz .LBB26_10
; %bb.11:                               ;   in Loop: Header=BB26_8 Depth=1
	s_or_b64 exec, exec, s[26:27]
.LBB26_12:                              ;   in Loop: Header=BB26_8 Depth=1
	s_or_b64 exec, exec, s[12:13]
	s_and_b64 vcc, exec, s[18:19]
	s_cbranch_vccz .LBB26_19
; %bb.13:                               ;   in Loop: Header=BB26_8 Depth=1
	v_cmp_ne_u32_e32 vcc, 63, v17
	s_nop 1
	v_addc_co_u32_e32 v8, vcc, 0, v16, vcc
	v_lshlrev_b32_e32 v9, 2, v8
	ds_bpermute_b32 v8, v9, v6
	ds_bpermute_b32 v9, v9, v7
	v_cmp_gt_u32_e32 vcc, 62, v17
	s_waitcnt lgkmcnt(0)
	v_add_f64 v[8:9], v[6:7], v[8:9]
	v_cndmask_b32_e64 v10, 0, 2, vcc
	v_add_lshl_u32 v11, v10, v16, 2
	ds_bpermute_b32 v10, v11, v8
	ds_bpermute_b32 v11, v11, v9
	v_cmp_gt_u32_e32 vcc, 60, v17
	s_waitcnt lgkmcnt(0)
	v_add_f64 v[8:9], v[8:9], v[10:11]
	v_cndmask_b32_e64 v10, 0, 4, vcc
	v_add_lshl_u32 v11, v10, v16, 2
	;; [unrolled: 7-line block ×4, first 2 shown]
	ds_bpermute_b32 v10, v11, v8
	ds_bpermute_b32 v11, v11, v9
	s_waitcnt lgkmcnt(0)
	v_add_f64 v[8:9], v[8:9], v[10:11]
	ds_bpermute_b32 v10, v18, v8
	ds_bpermute_b32 v11, v18, v9
	s_waitcnt lgkmcnt(0)
	v_add_f64 v[10:11], v[8:9], v[10:11]
	s_and_saveexec_b64 s[12:13], s[4:5]
; %bb.14:                               ;   in Loop: Header=BB26_8 Depth=1
	ds_write_b64 v13, v[10:11] offset:16384
; %bb.15:                               ;   in Loop: Header=BB26_8 Depth=1
	s_or_b64 exec, exec, s[12:13]
	s_mov_b64 s[24:25], 0
	s_mov_b64 s[12:13], 0
	s_waitcnt lgkmcnt(0)
	s_barrier
                                        ; implicit-def: $vgpr8_vgpr9
	s_and_saveexec_b64 s[26:27], s[6:7]
	s_xor_b64 s[26:27], exec, s[26:27]
	s_cbranch_execz .LBB26_17
; %bb.16:                               ;   in Loop: Header=BB26_8 Depth=1
	ds_read_b64 v[8:9], v15 offset:16392
	s_mov_b64 s[12:13], exec
	s_waitcnt lgkmcnt(0)
	v_add_f64 v[8:9], v[10:11], v[8:9]
.LBB26_17:                              ;   in Loop: Header=BB26_8 Depth=1
	s_or_b64 exec, exec, s[26:27]
	s_and_b64 vcc, exec, s[24:25]
	s_cbranch_vccnz .LBB26_20
.LBB26_18:                              ;   in Loop: Header=BB26_8 Depth=1
	v_mov_b64_e32 v[6:7], v[8:9]
	s_and_saveexec_b64 s[24:25], s[12:13]
	s_cbranch_execnz .LBB26_21
	s_branch .LBB26_22
.LBB26_19:                              ;   in Loop: Header=BB26_8 Depth=1
	s_mov_b64 s[12:13], 0
                                        ; implicit-def: $vgpr8_vgpr9
	s_cbranch_execz .LBB26_18
.LBB26_20:                              ;   in Loop: Header=BB26_8 Depth=1
	s_andn2_b64 s[12:13], s[12:13], exec
	s_and_b64 s[24:25], s[6:7], exec
	s_or_b64 s[12:13], s[12:13], s[24:25]
	s_and_saveexec_b64 s[24:25], s[12:13]
.LBB26_21:                              ;   in Loop: Header=BB26_8 Depth=1
	ds_write_b64 v15, v[6:7] offset:16384
.LBB26_22:                              ;   in Loop: Header=BB26_8 Depth=1
	s_or_b64 exec, exec, s[24:25]
	s_waitcnt lgkmcnt(0)
	s_barrier
	s_and_saveexec_b64 s[12:13], s[8:9]
	s_cbranch_execz .LBB26_7
; %bb.23:                               ;   in Loop: Header=BB26_8 Depth=1
	global_load_dwordx2 v[8:9], v15, s[0:1]
	ds_read_b64 v[10:11], v15 offset:16384
	s_mov_b64 s[24:25], 0
	v_mov_b32_e32 v19, v12
	v_mov_b64_e32 v[6:7], v[2:3]
	s_waitcnt vmcnt(0) lgkmcnt(0)
	v_mul_f64 v[8:9], v[10:11], -v[8:9]
	v_mov_b64_e32 v[10:11], v[0:1]
.LBB26_24:                              ;   Parent Loop BB26_8 Depth=1
                                        ; =>  This Inner Loop Header: Depth=2
	global_load_dwordx2 v[20:21], v[6:7], off
	ds_read_b64 v[22:23], v19
	v_lshl_add_u64 v[10:11], v[10:11], 0, s[20:21]
	v_cmp_le_i64_e32 vcc, s[14:15], v[10:11]
	s_or_b64 s[24:25], vcc, s[24:25]
	v_add_u32_e32 v19, 0x400, v19
	s_waitcnt vmcnt(0) lgkmcnt(0)
	v_fmac_f64_e32 v[20:21], v[8:9], v[22:23]
	global_store_dwordx2 v[6:7], v[20:21], off
	v_lshl_add_u64 v[6:7], v[6:7], 0, s[16:17]
	s_andn2_b64 exec, exec, s[24:25]
	s_cbranch_execnz .LBB26_24
	s_branch .LBB26_7
.LBB26_25:
	s_endpgm
	.section	.rodata,"a",@progbits
	.p2align	6, 0x0
	.amdhsa_kernel _ZN9rocsolver6v33100L23larf_right_kernel_smallILi128EdlPdEEvT1_S3_T2_lS3_lPKT0_lS4_lS3_l
		.amdhsa_group_segment_fixed_size 16400
		.amdhsa_private_segment_fixed_size 0
		.amdhsa_kernarg_size 96
		.amdhsa_user_sgpr_count 2
		.amdhsa_user_sgpr_dispatch_ptr 0
		.amdhsa_user_sgpr_queue_ptr 0
		.amdhsa_user_sgpr_kernarg_segment_ptr 1
		.amdhsa_user_sgpr_dispatch_id 0
		.amdhsa_user_sgpr_kernarg_preload_length 0
		.amdhsa_user_sgpr_kernarg_preload_offset 0
		.amdhsa_user_sgpr_private_segment_size 0
		.amdhsa_uses_dynamic_stack 0
		.amdhsa_enable_private_segment 0
		.amdhsa_system_sgpr_workgroup_id_x 1
		.amdhsa_system_sgpr_workgroup_id_y 1
		.amdhsa_system_sgpr_workgroup_id_z 0
		.amdhsa_system_sgpr_workgroup_info 0
		.amdhsa_system_vgpr_workitem_id 0
		.amdhsa_next_free_vgpr 81
		.amdhsa_next_free_sgpr 96
		.amdhsa_accum_offset 24
		.amdhsa_reserve_vcc 1
		.amdhsa_float_round_mode_32 0
		.amdhsa_float_round_mode_16_64 0
		.amdhsa_float_denorm_mode_32 3
		.amdhsa_float_denorm_mode_16_64 3
		.amdhsa_dx10_clamp 1
		.amdhsa_ieee_mode 1
		.amdhsa_fp16_overflow 0
		.amdhsa_tg_split 0
		.amdhsa_exception_fp_ieee_invalid_op 0
		.amdhsa_exception_fp_denorm_src 0
		.amdhsa_exception_fp_ieee_div_zero 0
		.amdhsa_exception_fp_ieee_overflow 0
		.amdhsa_exception_fp_ieee_underflow 0
		.amdhsa_exception_fp_ieee_inexact 0
		.amdhsa_exception_int_div_zero 0
	.end_amdhsa_kernel
	.section	.text._ZN9rocsolver6v33100L23larf_right_kernel_smallILi128EdlPdEEvT1_S3_T2_lS3_lPKT0_lS4_lS3_l,"axG",@progbits,_ZN9rocsolver6v33100L23larf_right_kernel_smallILi128EdlPdEEvT1_S3_T2_lS3_lPKT0_lS4_lS3_l,comdat
.Lfunc_end26:
	.size	_ZN9rocsolver6v33100L23larf_right_kernel_smallILi128EdlPdEEvT1_S3_T2_lS3_lPKT0_lS4_lS3_l, .Lfunc_end26-_ZN9rocsolver6v33100L23larf_right_kernel_smallILi128EdlPdEEvT1_S3_T2_lS3_lPKT0_lS4_lS3_l
                                        ; -- End function
	.set _ZN9rocsolver6v33100L23larf_right_kernel_smallILi128EdlPdEEvT1_S3_T2_lS3_lPKT0_lS4_lS3_l.num_vgpr, 24
	.set _ZN9rocsolver6v33100L23larf_right_kernel_smallILi128EdlPdEEvT1_S3_T2_lS3_lPKT0_lS4_lS3_l.num_agpr, 0
	.set _ZN9rocsolver6v33100L23larf_right_kernel_smallILi128EdlPdEEvT1_S3_T2_lS3_lPKT0_lS4_lS3_l.numbered_sgpr, 36
	.set _ZN9rocsolver6v33100L23larf_right_kernel_smallILi128EdlPdEEvT1_S3_T2_lS3_lPKT0_lS4_lS3_l.num_named_barrier, 0
	.set _ZN9rocsolver6v33100L23larf_right_kernel_smallILi128EdlPdEEvT1_S3_T2_lS3_lPKT0_lS4_lS3_l.private_seg_size, 0
	.set _ZN9rocsolver6v33100L23larf_right_kernel_smallILi128EdlPdEEvT1_S3_T2_lS3_lPKT0_lS4_lS3_l.uses_vcc, 1
	.set _ZN9rocsolver6v33100L23larf_right_kernel_smallILi128EdlPdEEvT1_S3_T2_lS3_lPKT0_lS4_lS3_l.uses_flat_scratch, 0
	.set _ZN9rocsolver6v33100L23larf_right_kernel_smallILi128EdlPdEEvT1_S3_T2_lS3_lPKT0_lS4_lS3_l.has_dyn_sized_stack, 0
	.set _ZN9rocsolver6v33100L23larf_right_kernel_smallILi128EdlPdEEvT1_S3_T2_lS3_lPKT0_lS4_lS3_l.has_recursion, 0
	.set _ZN9rocsolver6v33100L23larf_right_kernel_smallILi128EdlPdEEvT1_S3_T2_lS3_lPKT0_lS4_lS3_l.has_indirect_call, 0
	.section	.AMDGPU.csdata,"",@progbits
; Kernel info:
; codeLenInByte = 1244
; TotalNumSgprs: 42
; NumVgprs: 24
; NumAgprs: 0
; TotalNumVgprs: 24
; ScratchSize: 0
; MemoryBound: 0
; FloatMode: 240
; IeeeMode: 1
; LDSByteSize: 16400 bytes/workgroup (compile time only)
; SGPRBlocks: 12
; VGPRBlocks: 10
; NumSGPRsForWavesPerEU: 102
; NumVGPRsForWavesPerEU: 81
; AccumOffset: 24
; Occupancy: 5
; WaveLimiterHint : 0
; COMPUTE_PGM_RSRC2:SCRATCH_EN: 0
; COMPUTE_PGM_RSRC2:USER_SGPR: 2
; COMPUTE_PGM_RSRC2:TRAP_HANDLER: 0
; COMPUTE_PGM_RSRC2:TGID_X_EN: 1
; COMPUTE_PGM_RSRC2:TGID_Y_EN: 1
; COMPUTE_PGM_RSRC2:TGID_Z_EN: 0
; COMPUTE_PGM_RSRC2:TIDIG_COMP_CNT: 0
; COMPUTE_PGM_RSRC3_GFX90A:ACCUM_OFFSET: 5
; COMPUTE_PGM_RSRC3_GFX90A:TG_SPLIT: 0
	.section	.text._ZN9rocsolver6v33100L23larf_right_kernel_smallILi256EdlPdEEvT1_S3_T2_lS3_lPKT0_lS4_lS3_l,"axG",@progbits,_ZN9rocsolver6v33100L23larf_right_kernel_smallILi256EdlPdEEvT1_S3_T2_lS3_lPKT0_lS4_lS3_l,comdat
	.globl	_ZN9rocsolver6v33100L23larf_right_kernel_smallILi256EdlPdEEvT1_S3_T2_lS3_lPKT0_lS4_lS3_l ; -- Begin function _ZN9rocsolver6v33100L23larf_right_kernel_smallILi256EdlPdEEvT1_S3_T2_lS3_lPKT0_lS4_lS3_l
	.p2align	8
	.type	_ZN9rocsolver6v33100L23larf_right_kernel_smallILi256EdlPdEEvT1_S3_T2_lS3_lPKT0_lS4_lS3_l,@function
_ZN9rocsolver6v33100L23larf_right_kernel_smallILi256EdlPdEEvT1_S3_T2_lS3_lPKT0_lS4_lS3_l: ; @_ZN9rocsolver6v33100L23larf_right_kernel_smallILi256EdlPdEEvT1_S3_T2_lS3_lPKT0_lS4_lS3_l
; %bb.0:
	s_load_dwordx16 s[12:27], s[0:1], 0x0
	s_mov_b32 s10, s3
	s_mov_b64 s[6:7], 0
	s_waitcnt lgkmcnt(0)
	v_cmp_gt_i64_e64 s[4:5], s[20:21], 0
	s_and_b64 vcc, exec, s[4:5]
	s_cbranch_vccnz .LBB27_2
; %bb.1:
	s_sub_u32 s3, 1, s14
	s_subb_u32 s4, 0, s15
	s_mul_i32 s4, s20, s4
	s_mul_hi_u32 s5, s20, s3
	s_add_i32 s4, s5, s4
	s_mul_i32 s5, s21, s3
	s_add_i32 s7, s4, s5
	s_mul_i32 s6, s20, s3
.LBB27_2:
	v_mov_b32_e32 v1, 0
	v_cmp_gt_i64_e64 s[8:9], s[14:15], v[0:1]
	v_lshlrev_b32_e32 v12, 3, v0
	s_and_saveexec_b64 s[4:5], s[8:9]
	s_cbranch_execz .LBB27_5
; %bb.3:
	s_mul_i32 s3, s23, s2
	s_mul_hi_u32 s11, s22, s2
	s_add_i32 s23, s11, s3
	s_mul_i32 s22, s22, s2
	s_lshl_b64 s[22:23], s[22:23], 3
	s_lshl_b64 s[6:7], s[6:7], 3
	;; [unrolled: 1-line block ×3, first 2 shown]
	s_add_u32 s3, s16, s18
	s_addc_u32 s11, s17, s19
	v_mad_u64_u32 v[2:3], s[28:29], s20, v0, 0
	s_add_u32 s3, s3, s6
	v_mov_b32_e32 v4, v3
	s_addc_u32 s7, s11, s7
	v_mad_u64_u32 v[4:5], s[28:29], s21, v0, v[4:5]
	s_add_u32 s6, s3, s22
	v_mov_b32_e32 v3, v4
	s_addc_u32 s7, s7, s23
	v_lshl_add_u64 v[2:3], v[2:3], 3, s[6:7]
	s_lshl_b64 s[6:7], s[20:21], 11
	v_lshlrev_b32_e32 v6, 3, v0
	s_mov_b64 s[16:17], 0
	s_mov_b64 s[18:19], 0x100
	v_mov_b64_e32 v[4:5], v[0:1]
.LBB27_4:                               ; =>This Inner Loop Header: Depth=1
	global_load_dwordx2 v[8:9], v[2:3], off
	v_lshl_add_u64 v[4:5], v[4:5], 0, s[18:19]
	v_cmp_le_i64_e32 vcc, s[14:15], v[4:5]
	v_lshl_add_u64 v[2:3], v[2:3], 0, s[6:7]
	s_or_b64 s[16:17], vcc, s[16:17]
	s_waitcnt vmcnt(0)
	ds_write_b64 v6, v[8:9]
	v_add_u32_e32 v6, 0x800, v6
	s_andn2_b64 exec, exec, s[16:17]
	s_cbranch_execnz .LBB27_4
.LBB27_5:
	s_or_b64 exec, exec, s[4:5]
	s_mov_b32 s11, 0
	v_mov_b64_e32 v[2:3], s[10:11]
	v_cmp_le_i64_e32 vcc, s[12:13], v[2:3]
	s_waitcnt lgkmcnt(0)
	s_barrier
	s_cbranch_vccnz .LBB27_25
; %bb.6:
	s_load_dwordx8 s[16:23], s[0:1], 0x40
	s_mul_i32 s3, s27, s2
	v_and_b32_e32 v2, 63, v0
	v_mbcnt_lo_u32_b32 v6, -1, 0
	v_mbcnt_hi_u32_b32 v17, -1, v6
	s_waitcnt lgkmcnt(0)
	s_mul_i32 s1, s23, s2
	s_mul_hi_u32 s4, s22, s2
	s_mul_i32 s0, s22, s2
	s_add_i32 s1, s4, s1
	s_lshl_b64 s[22:23], s[0:1], 3
	s_add_u32 s0, s16, s22
	s_addc_u32 s1, s17, s23
	s_lshl_b64 s[34:35], s[18:19], 3
	s_add_u32 s28, s0, s34
	s_mul_hi_u32 s0, s26, s2
	s_addc_u32 s29, s1, s35
	s_add_i32 s1, s0, s3
	s_mul_i32 s0, s26, s2
	s_lshl_b64 s[0:1], s[0:1], 3
	s_add_u32 s0, s24, s0
	s_addc_u32 s1, s25, s1
	v_cmp_eq_u32_e64 s[4:5], 0, v2
	v_mad_u64_u32 v[2:3], s[24:25], s20, v0, 0
	v_mov_b32_e32 v4, v3
	s_cmp_gt_i32 s14, 1
	v_mad_u64_u32 v[4:5], s[24:25], s21, v0, v[4:5]
	s_cselect_b64 s[18:19], -1, 0
	s_lshl_b32 s30, s20, 8
	s_lshl_b64 s[24:25], s[10:11], 3
	s_add_u32 s16, s16, s24
	s_addc_u32 s17, s17, s25
	s_add_u32 s16, s16, s34
	s_addc_u32 s17, s17, s35
	s_add_u32 s16, s16, s22
	v_mov_b32_e32 v3, v4
	s_addc_u32 s17, s17, s23
	v_mov_b32_e32 v6, 0x80
	v_cmp_gt_i32_e64 s[2:3], s14, v0
	v_lshrrev_b32_e32 v13, 3, v0
	v_cmp_eq_u32_e64 s[6:7], 0, v0
	v_mul_lo_u32 v14, v0, s20
	v_lshl_add_u64 v[2:3], v[2:3], 3, s[16:17]
	s_lshl_b64 s[16:17], s[20:21], 11
	v_mov_b32_e32 v15, 0x4008
	v_mov_b32_e32 v16, 0
	s_mov_b64 s[20:21], 0x100
	s_mov_b64 s[22:23], 0x200
	v_mov_b64_e32 v[4:5], s[12:13]
	v_and_b32_e32 v18, 63, v17
	v_lshl_or_b32 v19, v17, 2, v6
	s_branch .LBB27_8
.LBB27_7:                               ;   in Loop: Header=BB27_8 Depth=1
	s_or_b64 exec, exec, s[12:13]
	s_add_u32 s10, s10, 64
	s_addc_u32 s11, s11, 0
	v_cmp_ge_i64_e32 vcc, s[10:11], v[4:5]
	v_lshl_add_u64 v[2:3], v[2:3], 0, s[22:23]
	s_cbranch_vccnz .LBB27_25
.LBB27_8:                               ; =>This Loop Header: Depth=1
                                        ;     Child Loop BB27_10 Depth 2
                                        ;     Child Loop BB27_24 Depth 2
	v_mov_b64_e32 v[6:7], 0
	s_and_saveexec_b64 s[12:13], s[2:3]
	s_cbranch_execz .LBB27_12
; %bb.9:                                ;   in Loop: Header=BB27_8 Depth=1
	s_lshl_b64 s[24:25], s[10:11], 3
	s_add_u32 s24, s28, s24
	s_addc_u32 s25, s29, s25
	v_mov_b64_e32 v[6:7], 0
	s_mov_b64 s[26:27], 0
	v_mov_b32_e32 v8, v14
	v_mov_b32_e32 v10, v12
	;; [unrolled: 1-line block ×3, first 2 shown]
.LBB27_10:                              ;   Parent Loop BB27_8 Depth=1
                                        ; =>  This Inner Loop Header: Depth=2
	v_ashrrev_i32_e32 v9, 31, v8
	v_lshl_add_u64 v[20:21], v[8:9], 3, s[24:25]
	global_load_dwordx2 v[20:21], v[20:21], off
	ds_read_b64 v[22:23], v10
	v_add_u32_e32 v11, 0x100, v11
	v_cmp_le_i32_e32 vcc, s14, v11
	v_add_u32_e32 v10, 0x800, v10
	v_add_u32_e32 v8, s30, v8
	s_or_b64 s[26:27], vcc, s[26:27]
	s_waitcnt vmcnt(0) lgkmcnt(0)
	v_fmac_f64_e32 v[6:7], v[22:23], v[20:21]
	s_andn2_b64 exec, exec, s[26:27]
	s_cbranch_execnz .LBB27_10
; %bb.11:                               ;   in Loop: Header=BB27_8 Depth=1
	s_or_b64 exec, exec, s[26:27]
.LBB27_12:                              ;   in Loop: Header=BB27_8 Depth=1
	s_or_b64 exec, exec, s[12:13]
	s_and_b64 vcc, exec, s[18:19]
	s_cbranch_vccz .LBB27_19
; %bb.13:                               ;   in Loop: Header=BB27_8 Depth=1
	v_cmp_ne_u32_e32 vcc, 63, v18
	s_nop 1
	v_addc_co_u32_e32 v8, vcc, 0, v17, vcc
	v_lshlrev_b32_e32 v9, 2, v8
	ds_bpermute_b32 v8, v9, v6
	ds_bpermute_b32 v9, v9, v7
	v_cmp_gt_u32_e32 vcc, 62, v18
	s_waitcnt lgkmcnt(0)
	v_add_f64 v[8:9], v[6:7], v[8:9]
	v_cndmask_b32_e64 v10, 0, 2, vcc
	v_add_lshl_u32 v11, v10, v17, 2
	ds_bpermute_b32 v10, v11, v8
	ds_bpermute_b32 v11, v11, v9
	v_cmp_gt_u32_e32 vcc, 60, v18
	s_waitcnt lgkmcnt(0)
	v_add_f64 v[8:9], v[8:9], v[10:11]
	v_cndmask_b32_e64 v10, 0, 4, vcc
	v_add_lshl_u32 v11, v10, v17, 2
	;; [unrolled: 7-line block ×4, first 2 shown]
	ds_bpermute_b32 v10, v11, v8
	ds_bpermute_b32 v11, v11, v9
	s_waitcnt lgkmcnt(0)
	v_add_f64 v[8:9], v[8:9], v[10:11]
	ds_bpermute_b32 v10, v19, v8
	ds_bpermute_b32 v11, v19, v9
	s_waitcnt lgkmcnt(0)
	v_add_f64 v[8:9], v[8:9], v[10:11]
	s_and_saveexec_b64 s[12:13], s[4:5]
; %bb.14:                               ;   in Loop: Header=BB27_8 Depth=1
	ds_write_b64 v13, v[8:9] offset:16384
; %bb.15:                               ;   in Loop: Header=BB27_8 Depth=1
	s_or_b64 exec, exec, s[12:13]
	s_mov_b64 s[24:25], 0
	s_mov_b64 s[12:13], 0
	s_waitcnt lgkmcnt(0)
	s_barrier
                                        ; implicit-def: $vgpr10_vgpr11
	s_and_saveexec_b64 s[26:27], s[6:7]
	s_xor_b64 s[26:27], exec, s[26:27]
	s_cbranch_execz .LBB27_17
; %bb.16:                               ;   in Loop: Header=BB27_8 Depth=1
	ds_read2_b64 v[20:23], v15 offset1:1
	ds_read_b64 v[10:11], v16 offset:16408
	s_mov_b64 s[12:13], exec
	s_waitcnt lgkmcnt(1)
	v_add_f64 v[8:9], v[8:9], v[20:21]
	v_add_f64 v[8:9], v[8:9], v[22:23]
	s_waitcnt lgkmcnt(0)
	v_add_f64 v[10:11], v[8:9], v[10:11]
.LBB27_17:                              ;   in Loop: Header=BB27_8 Depth=1
	s_or_b64 exec, exec, s[26:27]
	s_and_b64 vcc, exec, s[24:25]
	s_cbranch_vccnz .LBB27_20
.LBB27_18:                              ;   in Loop: Header=BB27_8 Depth=1
	v_mov_b64_e32 v[6:7], v[10:11]
	s_and_saveexec_b64 s[24:25], s[12:13]
	s_cbranch_execnz .LBB27_21
	s_branch .LBB27_22
.LBB27_19:                              ;   in Loop: Header=BB27_8 Depth=1
	s_mov_b64 s[12:13], 0
                                        ; implicit-def: $vgpr10_vgpr11
	s_cbranch_execz .LBB27_18
.LBB27_20:                              ;   in Loop: Header=BB27_8 Depth=1
	s_andn2_b64 s[12:13], s[12:13], exec
	s_and_b64 s[24:25], s[6:7], exec
	s_or_b64 s[12:13], s[12:13], s[24:25]
	s_and_saveexec_b64 s[24:25], s[12:13]
.LBB27_21:                              ;   in Loop: Header=BB27_8 Depth=1
	ds_write_b64 v16, v[6:7] offset:16384
.LBB27_22:                              ;   in Loop: Header=BB27_8 Depth=1
	s_or_b64 exec, exec, s[24:25]
	s_waitcnt lgkmcnt(0)
	s_barrier
	s_and_saveexec_b64 s[12:13], s[8:9]
	s_cbranch_execz .LBB27_7
; %bb.23:                               ;   in Loop: Header=BB27_8 Depth=1
	global_load_dwordx2 v[8:9], v16, s[0:1]
	ds_read_b64 v[10:11], v16 offset:16384
	s_mov_b64 s[24:25], 0
	v_mov_b32_e32 v20, v12
	v_mov_b64_e32 v[6:7], v[2:3]
	s_waitcnt vmcnt(0) lgkmcnt(0)
	v_mul_f64 v[8:9], v[10:11], -v[8:9]
	v_mov_b64_e32 v[10:11], v[0:1]
.LBB27_24:                              ;   Parent Loop BB27_8 Depth=1
                                        ; =>  This Inner Loop Header: Depth=2
	global_load_dwordx2 v[22:23], v[6:7], off
	ds_read_b64 v[24:25], v20
	v_lshl_add_u64 v[10:11], v[10:11], 0, s[20:21]
	v_cmp_le_i64_e32 vcc, s[14:15], v[10:11]
	s_or_b64 s[24:25], vcc, s[24:25]
	v_add_u32_e32 v20, 0x800, v20
	s_waitcnt vmcnt(0) lgkmcnt(0)
	v_fmac_f64_e32 v[22:23], v[8:9], v[24:25]
	global_store_dwordx2 v[6:7], v[22:23], off
	v_lshl_add_u64 v[6:7], v[6:7], 0, s[16:17]
	s_andn2_b64 exec, exec, s[24:25]
	s_cbranch_execnz .LBB27_24
	s_branch .LBB27_7
.LBB27_25:
	s_endpgm
	.section	.rodata,"a",@progbits
	.p2align	6, 0x0
	.amdhsa_kernel _ZN9rocsolver6v33100L23larf_right_kernel_smallILi256EdlPdEEvT1_S3_T2_lS3_lPKT0_lS4_lS3_l
		.amdhsa_group_segment_fixed_size 16416
		.amdhsa_private_segment_fixed_size 0
		.amdhsa_kernarg_size 96
		.amdhsa_user_sgpr_count 2
		.amdhsa_user_sgpr_dispatch_ptr 0
		.amdhsa_user_sgpr_queue_ptr 0
		.amdhsa_user_sgpr_kernarg_segment_ptr 1
		.amdhsa_user_sgpr_dispatch_id 0
		.amdhsa_user_sgpr_kernarg_preload_length 0
		.amdhsa_user_sgpr_kernarg_preload_offset 0
		.amdhsa_user_sgpr_private_segment_size 0
		.amdhsa_uses_dynamic_stack 0
		.amdhsa_enable_private_segment 0
		.amdhsa_system_sgpr_workgroup_id_x 1
		.amdhsa_system_sgpr_workgroup_id_y 1
		.amdhsa_system_sgpr_workgroup_id_z 0
		.amdhsa_system_sgpr_workgroup_info 0
		.amdhsa_system_vgpr_workitem_id 0
		.amdhsa_next_free_vgpr 26
		.amdhsa_next_free_sgpr 36
		.amdhsa_accum_offset 28
		.amdhsa_reserve_vcc 1
		.amdhsa_float_round_mode_32 0
		.amdhsa_float_round_mode_16_64 0
		.amdhsa_float_denorm_mode_32 3
		.amdhsa_float_denorm_mode_16_64 3
		.amdhsa_dx10_clamp 1
		.amdhsa_ieee_mode 1
		.amdhsa_fp16_overflow 0
		.amdhsa_tg_split 0
		.amdhsa_exception_fp_ieee_invalid_op 0
		.amdhsa_exception_fp_denorm_src 0
		.amdhsa_exception_fp_ieee_div_zero 0
		.amdhsa_exception_fp_ieee_overflow 0
		.amdhsa_exception_fp_ieee_underflow 0
		.amdhsa_exception_fp_ieee_inexact 0
		.amdhsa_exception_int_div_zero 0
	.end_amdhsa_kernel
	.section	.text._ZN9rocsolver6v33100L23larf_right_kernel_smallILi256EdlPdEEvT1_S3_T2_lS3_lPKT0_lS4_lS3_l,"axG",@progbits,_ZN9rocsolver6v33100L23larf_right_kernel_smallILi256EdlPdEEvT1_S3_T2_lS3_lPKT0_lS4_lS3_l,comdat
.Lfunc_end27:
	.size	_ZN9rocsolver6v33100L23larf_right_kernel_smallILi256EdlPdEEvT1_S3_T2_lS3_lPKT0_lS4_lS3_l, .Lfunc_end27-_ZN9rocsolver6v33100L23larf_right_kernel_smallILi256EdlPdEEvT1_S3_T2_lS3_lPKT0_lS4_lS3_l
                                        ; -- End function
	.set _ZN9rocsolver6v33100L23larf_right_kernel_smallILi256EdlPdEEvT1_S3_T2_lS3_lPKT0_lS4_lS3_l.num_vgpr, 26
	.set _ZN9rocsolver6v33100L23larf_right_kernel_smallILi256EdlPdEEvT1_S3_T2_lS3_lPKT0_lS4_lS3_l.num_agpr, 0
	.set _ZN9rocsolver6v33100L23larf_right_kernel_smallILi256EdlPdEEvT1_S3_T2_lS3_lPKT0_lS4_lS3_l.numbered_sgpr, 36
	.set _ZN9rocsolver6v33100L23larf_right_kernel_smallILi256EdlPdEEvT1_S3_T2_lS3_lPKT0_lS4_lS3_l.num_named_barrier, 0
	.set _ZN9rocsolver6v33100L23larf_right_kernel_smallILi256EdlPdEEvT1_S3_T2_lS3_lPKT0_lS4_lS3_l.private_seg_size, 0
	.set _ZN9rocsolver6v33100L23larf_right_kernel_smallILi256EdlPdEEvT1_S3_T2_lS3_lPKT0_lS4_lS3_l.uses_vcc, 1
	.set _ZN9rocsolver6v33100L23larf_right_kernel_smallILi256EdlPdEEvT1_S3_T2_lS3_lPKT0_lS4_lS3_l.uses_flat_scratch, 0
	.set _ZN9rocsolver6v33100L23larf_right_kernel_smallILi256EdlPdEEvT1_S3_T2_lS3_lPKT0_lS4_lS3_l.has_dyn_sized_stack, 0
	.set _ZN9rocsolver6v33100L23larf_right_kernel_smallILi256EdlPdEEvT1_S3_T2_lS3_lPKT0_lS4_lS3_l.has_recursion, 0
	.set _ZN9rocsolver6v33100L23larf_right_kernel_smallILi256EdlPdEEvT1_S3_T2_lS3_lPKT0_lS4_lS3_l.has_indirect_call, 0
	.section	.AMDGPU.csdata,"",@progbits
; Kernel info:
; codeLenInByte = 1280
; TotalNumSgprs: 42
; NumVgprs: 26
; NumAgprs: 0
; TotalNumVgprs: 26
; ScratchSize: 0
; MemoryBound: 0
; FloatMode: 240
; IeeeMode: 1
; LDSByteSize: 16416 bytes/workgroup (compile time only)
; SGPRBlocks: 5
; VGPRBlocks: 3
; NumSGPRsForWavesPerEU: 42
; NumVGPRsForWavesPerEU: 26
; AccumOffset: 28
; Occupancy: 8
; WaveLimiterHint : 0
; COMPUTE_PGM_RSRC2:SCRATCH_EN: 0
; COMPUTE_PGM_RSRC2:USER_SGPR: 2
; COMPUTE_PGM_RSRC2:TRAP_HANDLER: 0
; COMPUTE_PGM_RSRC2:TGID_X_EN: 1
; COMPUTE_PGM_RSRC2:TGID_Y_EN: 1
; COMPUTE_PGM_RSRC2:TGID_Z_EN: 0
; COMPUTE_PGM_RSRC2:TIDIG_COMP_CNT: 0
; COMPUTE_PGM_RSRC3_GFX90A:ACCUM_OFFSET: 6
; COMPUTE_PGM_RSRC3_GFX90A:TG_SPLIT: 0
	.section	.text._ZN9rocsolver6v33100L23larf_right_kernel_smallILi512EdlPdEEvT1_S3_T2_lS3_lPKT0_lS4_lS3_l,"axG",@progbits,_ZN9rocsolver6v33100L23larf_right_kernel_smallILi512EdlPdEEvT1_S3_T2_lS3_lPKT0_lS4_lS3_l,comdat
	.globl	_ZN9rocsolver6v33100L23larf_right_kernel_smallILi512EdlPdEEvT1_S3_T2_lS3_lPKT0_lS4_lS3_l ; -- Begin function _ZN9rocsolver6v33100L23larf_right_kernel_smallILi512EdlPdEEvT1_S3_T2_lS3_lPKT0_lS4_lS3_l
	.p2align	8
	.type	_ZN9rocsolver6v33100L23larf_right_kernel_smallILi512EdlPdEEvT1_S3_T2_lS3_lPKT0_lS4_lS3_l,@function
_ZN9rocsolver6v33100L23larf_right_kernel_smallILi512EdlPdEEvT1_S3_T2_lS3_lPKT0_lS4_lS3_l: ; @_ZN9rocsolver6v33100L23larf_right_kernel_smallILi512EdlPdEEvT1_S3_T2_lS3_lPKT0_lS4_lS3_l
; %bb.0:
	s_load_dwordx16 s[12:27], s[0:1], 0x0
	s_mov_b32 s10, s3
	s_mov_b64 s[6:7], 0
	s_waitcnt lgkmcnt(0)
	v_cmp_gt_i64_e64 s[4:5], s[20:21], 0
	s_and_b64 vcc, exec, s[4:5]
	s_cbranch_vccnz .LBB28_2
; %bb.1:
	s_sub_u32 s3, 1, s14
	s_subb_u32 s4, 0, s15
	s_mul_i32 s4, s20, s4
	s_mul_hi_u32 s5, s20, s3
	s_add_i32 s4, s5, s4
	s_mul_i32 s5, s21, s3
	s_add_i32 s7, s4, s5
	s_mul_i32 s6, s20, s3
.LBB28_2:
	v_mov_b32_e32 v1, 0
	v_cmp_gt_i64_e64 s[8:9], s[14:15], v[0:1]
	v_lshlrev_b32_e32 v12, 3, v0
	s_and_saveexec_b64 s[4:5], s[8:9]
	s_cbranch_execz .LBB28_5
; %bb.3:
	s_mul_i32 s3, s23, s2
	s_mul_hi_u32 s11, s22, s2
	s_add_i32 s23, s11, s3
	s_mul_i32 s22, s22, s2
	s_lshl_b64 s[22:23], s[22:23], 3
	s_lshl_b64 s[6:7], s[6:7], 3
	;; [unrolled: 1-line block ×3, first 2 shown]
	s_add_u32 s3, s16, s18
	s_addc_u32 s11, s17, s19
	v_mad_u64_u32 v[2:3], s[28:29], s20, v0, 0
	s_add_u32 s3, s3, s6
	v_mov_b32_e32 v4, v3
	s_addc_u32 s7, s11, s7
	v_mad_u64_u32 v[4:5], s[28:29], s21, v0, v[4:5]
	s_add_u32 s6, s3, s22
	v_mov_b32_e32 v3, v4
	s_addc_u32 s7, s7, s23
	v_lshl_add_u64 v[2:3], v[2:3], 3, s[6:7]
	s_lshl_b64 s[6:7], s[20:21], 12
	v_lshlrev_b32_e32 v6, 3, v0
	s_mov_b64 s[16:17], 0
	s_mov_b64 s[18:19], 0x200
	v_mov_b64_e32 v[4:5], v[0:1]
.LBB28_4:                               ; =>This Inner Loop Header: Depth=1
	global_load_dwordx2 v[8:9], v[2:3], off
	v_lshl_add_u64 v[4:5], v[4:5], 0, s[18:19]
	v_cmp_le_i64_e32 vcc, s[14:15], v[4:5]
	v_lshl_add_u64 v[2:3], v[2:3], 0, s[6:7]
	s_or_b64 s[16:17], vcc, s[16:17]
	s_waitcnt vmcnt(0)
	ds_write_b64 v6, v[8:9]
	v_add_u32_e32 v6, 0x1000, v6
	s_andn2_b64 exec, exec, s[16:17]
	s_cbranch_execnz .LBB28_4
.LBB28_5:
	s_or_b64 exec, exec, s[4:5]
	s_mov_b32 s11, 0
	v_mov_b64_e32 v[2:3], s[10:11]
	v_cmp_le_i64_e32 vcc, s[12:13], v[2:3]
	s_waitcnt lgkmcnt(0)
	s_barrier
	s_cbranch_vccnz .LBB28_25
; %bb.6:
	s_load_dwordx8 s[16:23], s[0:1], 0x40
	s_mul_i32 s3, s27, s2
	v_and_b32_e32 v2, 63, v0
	v_mbcnt_lo_u32_b32 v6, -1, 0
	v_mbcnt_hi_u32_b32 v19, -1, v6
	s_waitcnt lgkmcnt(0)
	s_mul_i32 s1, s23, s2
	s_mul_hi_u32 s4, s22, s2
	s_mul_i32 s0, s22, s2
	s_add_i32 s1, s4, s1
	s_lshl_b64 s[22:23], s[0:1], 3
	s_add_u32 s0, s16, s22
	s_addc_u32 s1, s17, s23
	s_lshl_b64 s[30:31], s[18:19], 3
	s_add_u32 s27, s0, s30
	s_mul_hi_u32 s0, s26, s2
	s_addc_u32 s28, s1, s31
	s_add_i32 s1, s0, s3
	s_mul_i32 s0, s26, s2
	s_lshl_b64 s[0:1], s[0:1], 3
	s_add_u32 s0, s24, s0
	s_addc_u32 s1, s25, s1
	v_cmp_eq_u32_e64 s[4:5], 0, v2
	v_mad_u64_u32 v[2:3], s[24:25], s20, v0, 0
	v_mov_b32_e32 v4, v3
	s_cmp_gt_i32 s14, 1
	v_mad_u64_u32 v[4:5], s[24:25], s21, v0, v[4:5]
	s_cselect_b64 s[18:19], -1, 0
	s_lshl_b32 s26, s20, 9
	s_lshl_b64 s[24:25], s[10:11], 3
	s_add_u32 s16, s16, s24
	s_addc_u32 s17, s17, s25
	s_add_u32 s16, s16, s30
	s_addc_u32 s17, s17, s31
	s_add_u32 s16, s16, s22
	v_mov_b32_e32 v3, v4
	s_addc_u32 s17, s17, s23
	v_mov_b32_e32 v6, 0x80
	v_cmp_gt_i32_e64 s[2:3], s14, v0
	v_lshrrev_b32_e32 v13, 3, v0
	v_cmp_eq_u32_e64 s[6:7], 0, v0
	v_mul_lo_u32 v14, v0, s20
	v_lshl_add_u64 v[2:3], v[2:3], 3, s[16:17]
	s_lshl_b64 s[16:17], s[20:21], 12
	v_mov_b32_e32 v15, 0x4008
	v_mov_b32_e32 v16, 0x4018
	;; [unrolled: 1-line block ×4, first 2 shown]
	s_mov_b64 s[20:21], 0x200
	v_mov_b64_e32 v[4:5], s[12:13]
	v_and_b32_e32 v20, 63, v19
	v_lshl_or_b32 v21, v19, 2, v6
	s_branch .LBB28_8
.LBB28_7:                               ;   in Loop: Header=BB28_8 Depth=1
	s_or_b64 exec, exec, s[12:13]
	s_add_u32 s10, s10, 64
	s_addc_u32 s11, s11, 0
	v_cmp_ge_i64_e32 vcc, s[10:11], v[4:5]
	v_lshl_add_u64 v[2:3], v[2:3], 0, s[20:21]
	s_cbranch_vccnz .LBB28_25
.LBB28_8:                               ; =>This Loop Header: Depth=1
                                        ;     Child Loop BB28_10 Depth 2
                                        ;     Child Loop BB28_24 Depth 2
	v_mov_b64_e32 v[6:7], 0
	s_and_saveexec_b64 s[12:13], s[2:3]
	s_cbranch_execz .LBB28_12
; %bb.9:                                ;   in Loop: Header=BB28_8 Depth=1
	s_lshl_b64 s[22:23], s[10:11], 3
	s_add_u32 s22, s27, s22
	s_addc_u32 s23, s28, s23
	v_mov_b64_e32 v[6:7], 0
	s_mov_b64 s[24:25], 0
	v_mov_b32_e32 v8, v14
	v_mov_b32_e32 v10, v12
	;; [unrolled: 1-line block ×3, first 2 shown]
.LBB28_10:                              ;   Parent Loop BB28_8 Depth=1
                                        ; =>  This Inner Loop Header: Depth=2
	v_ashrrev_i32_e32 v9, 31, v8
	v_lshl_add_u64 v[22:23], v[8:9], 3, s[22:23]
	global_load_dwordx2 v[22:23], v[22:23], off
	ds_read_b64 v[24:25], v10
	v_add_u32_e32 v11, 0x200, v11
	v_cmp_le_i32_e32 vcc, s14, v11
	v_add_u32_e32 v10, 0x1000, v10
	v_add_u32_e32 v8, s26, v8
	s_or_b64 s[24:25], vcc, s[24:25]
	s_waitcnt vmcnt(0) lgkmcnt(0)
	v_fmac_f64_e32 v[6:7], v[24:25], v[22:23]
	s_andn2_b64 exec, exec, s[24:25]
	s_cbranch_execnz .LBB28_10
; %bb.11:                               ;   in Loop: Header=BB28_8 Depth=1
	s_or_b64 exec, exec, s[24:25]
.LBB28_12:                              ;   in Loop: Header=BB28_8 Depth=1
	s_or_b64 exec, exec, s[12:13]
	s_and_b64 vcc, exec, s[18:19]
	s_cbranch_vccz .LBB28_19
; %bb.13:                               ;   in Loop: Header=BB28_8 Depth=1
	v_cmp_ne_u32_e32 vcc, 63, v20
	s_nop 1
	v_addc_co_u32_e32 v8, vcc, 0, v19, vcc
	v_lshlrev_b32_e32 v9, 2, v8
	ds_bpermute_b32 v8, v9, v6
	ds_bpermute_b32 v9, v9, v7
	v_cmp_gt_u32_e32 vcc, 62, v20
	s_waitcnt lgkmcnt(0)
	v_add_f64 v[8:9], v[6:7], v[8:9]
	v_cndmask_b32_e64 v10, 0, 2, vcc
	v_add_lshl_u32 v11, v10, v19, 2
	ds_bpermute_b32 v10, v11, v8
	ds_bpermute_b32 v11, v11, v9
	v_cmp_gt_u32_e32 vcc, 60, v20
	s_waitcnt lgkmcnt(0)
	v_add_f64 v[8:9], v[8:9], v[10:11]
	v_cndmask_b32_e64 v10, 0, 4, vcc
	v_add_lshl_u32 v11, v10, v19, 2
	;; [unrolled: 7-line block ×4, first 2 shown]
	ds_bpermute_b32 v10, v11, v8
	ds_bpermute_b32 v11, v11, v9
	s_waitcnt lgkmcnt(0)
	v_add_f64 v[8:9], v[8:9], v[10:11]
	ds_bpermute_b32 v10, v21, v8
	ds_bpermute_b32 v11, v21, v9
	s_waitcnt lgkmcnt(0)
	v_add_f64 v[8:9], v[8:9], v[10:11]
	s_and_saveexec_b64 s[12:13], s[4:5]
; %bb.14:                               ;   in Loop: Header=BB28_8 Depth=1
	ds_write_b64 v13, v[8:9] offset:16384
; %bb.15:                               ;   in Loop: Header=BB28_8 Depth=1
	s_or_b64 exec, exec, s[12:13]
	s_mov_b64 s[22:23], 0
	s_mov_b64 s[12:13], 0
	s_waitcnt lgkmcnt(0)
	s_barrier
                                        ; implicit-def: $vgpr10_vgpr11
	s_and_saveexec_b64 s[24:25], s[6:7]
	s_xor_b64 s[24:25], exec, s[24:25]
	s_cbranch_execz .LBB28_17
; %bb.16:                               ;   in Loop: Header=BB28_8 Depth=1
	ds_read2_b64 v[22:25], v15 offset1:1
	ds_read2_b64 v[26:29], v16 offset1:1
	;; [unrolled: 1-line block ×3, first 2 shown]
	ds_read_b64 v[10:11], v18 offset:16440
	s_mov_b64 s[12:13], exec
	s_waitcnt lgkmcnt(3)
	v_add_f64 v[8:9], v[8:9], v[22:23]
	v_add_f64 v[8:9], v[8:9], v[24:25]
	s_waitcnt lgkmcnt(2)
	v_add_f64 v[8:9], v[8:9], v[26:27]
	v_add_f64 v[8:9], v[8:9], v[28:29]
	;; [unrolled: 3-line block ×3, first 2 shown]
	s_waitcnt lgkmcnt(0)
	v_add_f64 v[10:11], v[8:9], v[10:11]
.LBB28_17:                              ;   in Loop: Header=BB28_8 Depth=1
	s_or_b64 exec, exec, s[24:25]
	s_and_b64 vcc, exec, s[22:23]
	s_cbranch_vccnz .LBB28_20
.LBB28_18:                              ;   in Loop: Header=BB28_8 Depth=1
	v_mov_b64_e32 v[6:7], v[10:11]
	s_and_saveexec_b64 s[22:23], s[12:13]
	s_cbranch_execnz .LBB28_21
	s_branch .LBB28_22
.LBB28_19:                              ;   in Loop: Header=BB28_8 Depth=1
	s_mov_b64 s[12:13], 0
                                        ; implicit-def: $vgpr10_vgpr11
	s_cbranch_execz .LBB28_18
.LBB28_20:                              ;   in Loop: Header=BB28_8 Depth=1
	s_andn2_b64 s[12:13], s[12:13], exec
	s_and_b64 s[22:23], s[6:7], exec
	s_or_b64 s[12:13], s[12:13], s[22:23]
	s_and_saveexec_b64 s[22:23], s[12:13]
.LBB28_21:                              ;   in Loop: Header=BB28_8 Depth=1
	ds_write_b64 v18, v[6:7] offset:16384
.LBB28_22:                              ;   in Loop: Header=BB28_8 Depth=1
	s_or_b64 exec, exec, s[22:23]
	s_waitcnt lgkmcnt(0)
	s_barrier
	s_and_saveexec_b64 s[12:13], s[8:9]
	s_cbranch_execz .LBB28_7
; %bb.23:                               ;   in Loop: Header=BB28_8 Depth=1
	global_load_dwordx2 v[8:9], v18, s[0:1]
	ds_read_b64 v[10:11], v18 offset:16384
	s_mov_b64 s[22:23], 0
	v_mov_b32_e32 v22, v12
	v_mov_b64_e32 v[6:7], v[2:3]
	s_waitcnt vmcnt(0) lgkmcnt(0)
	v_mul_f64 v[8:9], v[10:11], -v[8:9]
	v_mov_b64_e32 v[10:11], v[0:1]
.LBB28_24:                              ;   Parent Loop BB28_8 Depth=1
                                        ; =>  This Inner Loop Header: Depth=2
	global_load_dwordx2 v[24:25], v[6:7], off
	ds_read_b64 v[26:27], v22
	v_lshl_add_u64 v[10:11], v[10:11], 0, s[20:21]
	v_cmp_le_i64_e32 vcc, s[14:15], v[10:11]
	s_or_b64 s[22:23], vcc, s[22:23]
	v_add_u32_e32 v22, 0x1000, v22
	s_waitcnt vmcnt(0) lgkmcnt(0)
	v_fmac_f64_e32 v[24:25], v[8:9], v[26:27]
	global_store_dwordx2 v[6:7], v[24:25], off
	v_lshl_add_u64 v[6:7], v[6:7], 0, s[16:17]
	s_andn2_b64 exec, exec, s[22:23]
	s_cbranch_execnz .LBB28_24
	s_branch .LBB28_7
.LBB28_25:
	s_endpgm
	.section	.rodata,"a",@progbits
	.p2align	6, 0x0
	.amdhsa_kernel _ZN9rocsolver6v33100L23larf_right_kernel_smallILi512EdlPdEEvT1_S3_T2_lS3_lPKT0_lS4_lS3_l
		.amdhsa_group_segment_fixed_size 16448
		.amdhsa_private_segment_fixed_size 0
		.amdhsa_kernarg_size 96
		.amdhsa_user_sgpr_count 2
		.amdhsa_user_sgpr_dispatch_ptr 0
		.amdhsa_user_sgpr_queue_ptr 0
		.amdhsa_user_sgpr_kernarg_segment_ptr 1
		.amdhsa_user_sgpr_dispatch_id 0
		.amdhsa_user_sgpr_kernarg_preload_length 0
		.amdhsa_user_sgpr_kernarg_preload_offset 0
		.amdhsa_user_sgpr_private_segment_size 0
		.amdhsa_uses_dynamic_stack 0
		.amdhsa_enable_private_segment 0
		.amdhsa_system_sgpr_workgroup_id_x 1
		.amdhsa_system_sgpr_workgroup_id_y 1
		.amdhsa_system_sgpr_workgroup_id_z 0
		.amdhsa_system_sgpr_workgroup_info 0
		.amdhsa_system_vgpr_workitem_id 0
		.amdhsa_next_free_vgpr 34
		.amdhsa_next_free_sgpr 32
		.amdhsa_accum_offset 36
		.amdhsa_reserve_vcc 1
		.amdhsa_float_round_mode_32 0
		.amdhsa_float_round_mode_16_64 0
		.amdhsa_float_denorm_mode_32 3
		.amdhsa_float_denorm_mode_16_64 3
		.amdhsa_dx10_clamp 1
		.amdhsa_ieee_mode 1
		.amdhsa_fp16_overflow 0
		.amdhsa_tg_split 0
		.amdhsa_exception_fp_ieee_invalid_op 0
		.amdhsa_exception_fp_denorm_src 0
		.amdhsa_exception_fp_ieee_div_zero 0
		.amdhsa_exception_fp_ieee_overflow 0
		.amdhsa_exception_fp_ieee_underflow 0
		.amdhsa_exception_fp_ieee_inexact 0
		.amdhsa_exception_int_div_zero 0
	.end_amdhsa_kernel
	.section	.text._ZN9rocsolver6v33100L23larf_right_kernel_smallILi512EdlPdEEvT1_S3_T2_lS3_lPKT0_lS4_lS3_l,"axG",@progbits,_ZN9rocsolver6v33100L23larf_right_kernel_smallILi512EdlPdEEvT1_S3_T2_lS3_lPKT0_lS4_lS3_l,comdat
.Lfunc_end28:
	.size	_ZN9rocsolver6v33100L23larf_right_kernel_smallILi512EdlPdEEvT1_S3_T2_lS3_lPKT0_lS4_lS3_l, .Lfunc_end28-_ZN9rocsolver6v33100L23larf_right_kernel_smallILi512EdlPdEEvT1_S3_T2_lS3_lPKT0_lS4_lS3_l
                                        ; -- End function
	.set _ZN9rocsolver6v33100L23larf_right_kernel_smallILi512EdlPdEEvT1_S3_T2_lS3_lPKT0_lS4_lS3_l.num_vgpr, 34
	.set _ZN9rocsolver6v33100L23larf_right_kernel_smallILi512EdlPdEEvT1_S3_T2_lS3_lPKT0_lS4_lS3_l.num_agpr, 0
	.set _ZN9rocsolver6v33100L23larf_right_kernel_smallILi512EdlPdEEvT1_S3_T2_lS3_lPKT0_lS4_lS3_l.numbered_sgpr, 32
	.set _ZN9rocsolver6v33100L23larf_right_kernel_smallILi512EdlPdEEvT1_S3_T2_lS3_lPKT0_lS4_lS3_l.num_named_barrier, 0
	.set _ZN9rocsolver6v33100L23larf_right_kernel_smallILi512EdlPdEEvT1_S3_T2_lS3_lPKT0_lS4_lS3_l.private_seg_size, 0
	.set _ZN9rocsolver6v33100L23larf_right_kernel_smallILi512EdlPdEEvT1_S3_T2_lS3_lPKT0_lS4_lS3_l.uses_vcc, 1
	.set _ZN9rocsolver6v33100L23larf_right_kernel_smallILi512EdlPdEEvT1_S3_T2_lS3_lPKT0_lS4_lS3_l.uses_flat_scratch, 0
	.set _ZN9rocsolver6v33100L23larf_right_kernel_smallILi512EdlPdEEvT1_S3_T2_lS3_lPKT0_lS4_lS3_l.has_dyn_sized_stack, 0
	.set _ZN9rocsolver6v33100L23larf_right_kernel_smallILi512EdlPdEEvT1_S3_T2_lS3_lPKT0_lS4_lS3_l.has_recursion, 0
	.set _ZN9rocsolver6v33100L23larf_right_kernel_smallILi512EdlPdEEvT1_S3_T2_lS3_lPKT0_lS4_lS3_l.has_indirect_call, 0
	.section	.AMDGPU.csdata,"",@progbits
; Kernel info:
; codeLenInByte = 1344
; TotalNumSgprs: 38
; NumVgprs: 34
; NumAgprs: 0
; TotalNumVgprs: 34
; ScratchSize: 0
; MemoryBound: 0
; FloatMode: 240
; IeeeMode: 1
; LDSByteSize: 16448 bytes/workgroup (compile time only)
; SGPRBlocks: 4
; VGPRBlocks: 4
; NumSGPRsForWavesPerEU: 38
; NumVGPRsForWavesPerEU: 34
; AccumOffset: 36
; Occupancy: 8
; WaveLimiterHint : 0
; COMPUTE_PGM_RSRC2:SCRATCH_EN: 0
; COMPUTE_PGM_RSRC2:USER_SGPR: 2
; COMPUTE_PGM_RSRC2:TRAP_HANDLER: 0
; COMPUTE_PGM_RSRC2:TGID_X_EN: 1
; COMPUTE_PGM_RSRC2:TGID_Y_EN: 1
; COMPUTE_PGM_RSRC2:TGID_Z_EN: 0
; COMPUTE_PGM_RSRC2:TIDIG_COMP_CNT: 0
; COMPUTE_PGM_RSRC3_GFX90A:ACCUM_OFFSET: 8
; COMPUTE_PGM_RSRC3_GFX90A:TG_SPLIT: 0
	.section	.text._ZN9rocsolver6v33100L23larf_right_kernel_smallILi1024EdlPdEEvT1_S3_T2_lS3_lPKT0_lS4_lS3_l,"axG",@progbits,_ZN9rocsolver6v33100L23larf_right_kernel_smallILi1024EdlPdEEvT1_S3_T2_lS3_lPKT0_lS4_lS3_l,comdat
	.globl	_ZN9rocsolver6v33100L23larf_right_kernel_smallILi1024EdlPdEEvT1_S3_T2_lS3_lPKT0_lS4_lS3_l ; -- Begin function _ZN9rocsolver6v33100L23larf_right_kernel_smallILi1024EdlPdEEvT1_S3_T2_lS3_lPKT0_lS4_lS3_l
	.p2align	8
	.type	_ZN9rocsolver6v33100L23larf_right_kernel_smallILi1024EdlPdEEvT1_S3_T2_lS3_lPKT0_lS4_lS3_l,@function
_ZN9rocsolver6v33100L23larf_right_kernel_smallILi1024EdlPdEEvT1_S3_T2_lS3_lPKT0_lS4_lS3_l: ; @_ZN9rocsolver6v33100L23larf_right_kernel_smallILi1024EdlPdEEvT1_S3_T2_lS3_lPKT0_lS4_lS3_l
; %bb.0:
	s_load_dwordx16 s[12:27], s[0:1], 0x0
	s_mov_b32 s10, s3
	s_mov_b64 s[6:7], 0
	s_waitcnt lgkmcnt(0)
	v_cmp_gt_i64_e64 s[4:5], s[20:21], 0
	s_and_b64 vcc, exec, s[4:5]
	s_cbranch_vccnz .LBB29_2
; %bb.1:
	s_sub_u32 s3, 1, s14
	s_subb_u32 s4, 0, s15
	s_mul_i32 s4, s20, s4
	s_mul_hi_u32 s5, s20, s3
	s_add_i32 s4, s5, s4
	s_mul_i32 s5, s21, s3
	s_add_i32 s7, s4, s5
	s_mul_i32 s6, s20, s3
.LBB29_2:
	v_mov_b32_e32 v1, 0
	v_cmp_gt_i64_e64 s[8:9], s[14:15], v[0:1]
	v_lshlrev_b32_e32 v12, 3, v0
	s_and_saveexec_b64 s[4:5], s[8:9]
	s_cbranch_execz .LBB29_5
; %bb.3:
	s_mul_i32 s3, s23, s2
	s_mul_hi_u32 s11, s22, s2
	s_add_i32 s23, s11, s3
	s_mul_i32 s22, s22, s2
	s_lshl_b64 s[22:23], s[22:23], 3
	s_lshl_b64 s[6:7], s[6:7], 3
	;; [unrolled: 1-line block ×3, first 2 shown]
	s_add_u32 s3, s16, s18
	s_addc_u32 s11, s17, s19
	v_mad_u64_u32 v[2:3], s[28:29], s20, v0, 0
	s_add_u32 s3, s3, s6
	v_mov_b32_e32 v4, v3
	s_addc_u32 s7, s11, s7
	v_mad_u64_u32 v[4:5], s[28:29], s21, v0, v[4:5]
	s_add_u32 s6, s3, s22
	v_mov_b32_e32 v3, v4
	s_addc_u32 s7, s7, s23
	v_lshl_add_u64 v[2:3], v[2:3], 3, s[6:7]
	s_lshl_b64 s[6:7], s[20:21], 13
	v_lshlrev_b32_e32 v6, 3, v0
	s_mov_b64 s[16:17], 0
	s_mov_b64 s[18:19], 0x400
	v_mov_b64_e32 v[4:5], v[0:1]
.LBB29_4:                               ; =>This Inner Loop Header: Depth=1
	global_load_dwordx2 v[8:9], v[2:3], off
	v_lshl_add_u64 v[4:5], v[4:5], 0, s[18:19]
	v_cmp_le_i64_e32 vcc, s[14:15], v[4:5]
	v_lshl_add_u64 v[2:3], v[2:3], 0, s[6:7]
	s_or_b64 s[16:17], vcc, s[16:17]
	s_waitcnt vmcnt(0)
	ds_write_b64 v6, v[8:9]
	v_add_u32_e32 v6, 0x2000, v6
	s_andn2_b64 exec, exec, s[16:17]
	s_cbranch_execnz .LBB29_4
.LBB29_5:
	s_or_b64 exec, exec, s[4:5]
	s_mov_b32 s11, 0
	v_mov_b64_e32 v[2:3], s[10:11]
	v_cmp_le_i64_e32 vcc, s[12:13], v[2:3]
	s_waitcnt lgkmcnt(0)
	s_barrier
	s_cbranch_vccnz .LBB29_25
; %bb.6:
	s_load_dwordx8 s[16:23], s[0:1], 0x40
	s_mul_i32 s3, s27, s2
	v_and_b32_e32 v2, 63, v0
	v_mbcnt_lo_u32_b32 v6, -1, 0
	v_mbcnt_hi_u32_b32 v23, -1, v6
	s_waitcnt lgkmcnt(0)
	s_mul_i32 s1, s23, s2
	s_mul_hi_u32 s4, s22, s2
	s_mul_i32 s0, s22, s2
	s_add_i32 s1, s4, s1
	s_lshl_b64 s[22:23], s[0:1], 3
	s_add_u32 s0, s16, s22
	s_addc_u32 s1, s17, s23
	s_lshl_b64 s[34:35], s[18:19], 3
	s_add_u32 s28, s0, s34
	s_mul_hi_u32 s0, s26, s2
	s_addc_u32 s29, s1, s35
	s_add_i32 s1, s0, s3
	s_mul_i32 s0, s26, s2
	s_lshl_b64 s[0:1], s[0:1], 3
	s_add_u32 s0, s24, s0
	s_addc_u32 s1, s25, s1
	v_cmp_eq_u32_e64 s[4:5], 0, v2
	v_mad_u64_u32 v[2:3], s[24:25], s20, v0, 0
	v_mov_b32_e32 v4, v3
	s_cmp_gt_i32 s14, 1
	v_mad_u64_u32 v[4:5], s[24:25], s21, v0, v[4:5]
	s_cselect_b64 s[18:19], -1, 0
	s_lshl_b32 s30, s20, 10
	s_lshl_b64 s[24:25], s[10:11], 3
	s_add_u32 s16, s16, s24
	s_addc_u32 s17, s17, s25
	s_add_u32 s16, s16, s34
	s_addc_u32 s17, s17, s35
	s_add_u32 s16, s16, s22
	v_mov_b32_e32 v3, v4
	s_addc_u32 s17, s17, s23
	v_mov_b32_e32 v6, 0x80
	v_cmp_gt_i32_e64 s[2:3], s14, v0
	v_lshrrev_b32_e32 v13, 3, v0
	v_cmp_eq_u32_e64 s[6:7], 0, v0
	v_mul_lo_u32 v14, v0, s20
	v_lshl_add_u64 v[2:3], v[2:3], 3, s[16:17]
	s_lshl_b64 s[16:17], s[20:21], 13
	v_mov_b32_e32 v15, 0x4008
	v_mov_b32_e32 v16, 0x4018
	v_mov_b32_e32 v17, 0x4028
	v_mov_b32_e32 v18, 0x4038
	v_mov_b32_e32 v19, 0x4048
	v_mov_b32_e32 v20, 0x4058
	v_mov_b32_e32 v21, 0x4068
	v_mov_b32_e32 v22, 0
	s_mov_b64 s[20:21], 0x400
	s_mov_b64 s[22:23], 0x200
	v_mov_b64_e32 v[4:5], s[12:13]
	v_and_b32_e32 v24, 63, v23
	v_lshl_or_b32 v25, v23, 2, v6
	s_branch .LBB29_8
.LBB29_7:                               ;   in Loop: Header=BB29_8 Depth=1
	s_or_b64 exec, exec, s[12:13]
	s_add_u32 s10, s10, 64
	s_addc_u32 s11, s11, 0
	v_cmp_ge_i64_e32 vcc, s[10:11], v[4:5]
	v_lshl_add_u64 v[2:3], v[2:3], 0, s[22:23]
	s_cbranch_vccnz .LBB29_25
.LBB29_8:                               ; =>This Loop Header: Depth=1
                                        ;     Child Loop BB29_10 Depth 2
                                        ;     Child Loop BB29_24 Depth 2
	v_mov_b64_e32 v[6:7], 0
	s_and_saveexec_b64 s[12:13], s[2:3]
	s_cbranch_execz .LBB29_12
; %bb.9:                                ;   in Loop: Header=BB29_8 Depth=1
	s_lshl_b64 s[24:25], s[10:11], 3
	s_add_u32 s24, s28, s24
	s_addc_u32 s25, s29, s25
	v_mov_b64_e32 v[6:7], 0
	s_mov_b64 s[26:27], 0
	v_mov_b32_e32 v8, v14
	v_mov_b32_e32 v10, v12
	;; [unrolled: 1-line block ×3, first 2 shown]
.LBB29_10:                              ;   Parent Loop BB29_8 Depth=1
                                        ; =>  This Inner Loop Header: Depth=2
	v_ashrrev_i32_e32 v9, 31, v8
	v_lshl_add_u64 v[26:27], v[8:9], 3, s[24:25]
	global_load_dwordx2 v[26:27], v[26:27], off
	ds_read_b64 v[28:29], v10
	v_add_u32_e32 v11, 0x400, v11
	v_cmp_le_i32_e32 vcc, s14, v11
	v_add_u32_e32 v10, 0x2000, v10
	v_add_u32_e32 v8, s30, v8
	s_or_b64 s[26:27], vcc, s[26:27]
	s_waitcnt vmcnt(0) lgkmcnt(0)
	v_fmac_f64_e32 v[6:7], v[28:29], v[26:27]
	s_andn2_b64 exec, exec, s[26:27]
	s_cbranch_execnz .LBB29_10
; %bb.11:                               ;   in Loop: Header=BB29_8 Depth=1
	s_or_b64 exec, exec, s[26:27]
.LBB29_12:                              ;   in Loop: Header=BB29_8 Depth=1
	s_or_b64 exec, exec, s[12:13]
	s_and_b64 vcc, exec, s[18:19]
	s_cbranch_vccz .LBB29_19
; %bb.13:                               ;   in Loop: Header=BB29_8 Depth=1
	v_cmp_ne_u32_e32 vcc, 63, v24
	s_nop 1
	v_addc_co_u32_e32 v8, vcc, 0, v23, vcc
	v_lshlrev_b32_e32 v9, 2, v8
	ds_bpermute_b32 v8, v9, v6
	ds_bpermute_b32 v9, v9, v7
	v_cmp_gt_u32_e32 vcc, 62, v24
	s_waitcnt lgkmcnt(0)
	v_add_f64 v[8:9], v[6:7], v[8:9]
	v_cndmask_b32_e64 v10, 0, 2, vcc
	v_add_lshl_u32 v11, v10, v23, 2
	ds_bpermute_b32 v10, v11, v8
	ds_bpermute_b32 v11, v11, v9
	v_cmp_gt_u32_e32 vcc, 60, v24
	s_waitcnt lgkmcnt(0)
	v_add_f64 v[8:9], v[8:9], v[10:11]
	v_cndmask_b32_e64 v10, 0, 4, vcc
	v_add_lshl_u32 v11, v10, v23, 2
	;; [unrolled: 7-line block ×4, first 2 shown]
	ds_bpermute_b32 v10, v11, v8
	ds_bpermute_b32 v11, v11, v9
	s_waitcnt lgkmcnt(0)
	v_add_f64 v[8:9], v[8:9], v[10:11]
	ds_bpermute_b32 v10, v25, v8
	ds_bpermute_b32 v11, v25, v9
	s_waitcnt lgkmcnt(0)
	v_add_f64 v[8:9], v[8:9], v[10:11]
	s_and_saveexec_b64 s[12:13], s[4:5]
; %bb.14:                               ;   in Loop: Header=BB29_8 Depth=1
	ds_write_b64 v13, v[8:9] offset:16384
; %bb.15:                               ;   in Loop: Header=BB29_8 Depth=1
	s_or_b64 exec, exec, s[12:13]
	s_mov_b64 s[24:25], 0
	s_mov_b64 s[12:13], 0
	s_waitcnt lgkmcnt(0)
	s_barrier
                                        ; implicit-def: $vgpr10_vgpr11
	s_and_saveexec_b64 s[26:27], s[6:7]
	s_xor_b64 s[26:27], exec, s[26:27]
	s_cbranch_execz .LBB29_17
; %bb.16:                               ;   in Loop: Header=BB29_8 Depth=1
	ds_read2_b64 v[26:29], v15 offset1:1
	ds_read2_b64 v[30:33], v16 offset1:1
	;; [unrolled: 1-line block ×4, first 2 shown]
	s_mov_b64 s[12:13], exec
	s_waitcnt lgkmcnt(3)
	v_add_f64 v[8:9], v[8:9], v[26:27]
	v_add_f64 v[8:9], v[8:9], v[28:29]
	s_waitcnt lgkmcnt(2)
	v_add_f64 v[8:9], v[8:9], v[30:31]
	v_add_f64 v[8:9], v[8:9], v[32:33]
	s_waitcnt lgkmcnt(1)
	v_add_f64 v[26:27], v[8:9], v[34:35]
	ds_read2_b64 v[8:11], v19 offset1:1
	v_add_f64 v[26:27], v[26:27], v[36:37]
	s_waitcnt lgkmcnt(1)
	v_add_f64 v[26:27], v[26:27], v[38:39]
	v_add_f64 v[30:31], v[26:27], v[40:41]
	ds_read2_b64 v[26:29], v20 offset1:1
	s_waitcnt lgkmcnt(1)
	v_add_f64 v[8:9], v[30:31], v[8:9]
	ds_read2_b64 v[30:33], v21 offset1:1
	v_add_f64 v[8:9], v[8:9], v[10:11]
	ds_read_b64 v[10:11], v22 offset:16504
	s_waitcnt lgkmcnt(2)
	v_add_f64 v[8:9], v[8:9], v[26:27]
	v_add_f64 v[8:9], v[8:9], v[28:29]
	s_waitcnt lgkmcnt(1)
	v_add_f64 v[8:9], v[8:9], v[30:31]
	v_add_f64 v[8:9], v[8:9], v[32:33]
	s_waitcnt lgkmcnt(0)
	v_add_f64 v[10:11], v[8:9], v[10:11]
.LBB29_17:                              ;   in Loop: Header=BB29_8 Depth=1
	s_or_b64 exec, exec, s[26:27]
	s_and_b64 vcc, exec, s[24:25]
	s_cbranch_vccnz .LBB29_20
.LBB29_18:                              ;   in Loop: Header=BB29_8 Depth=1
	v_mov_b64_e32 v[6:7], v[10:11]
	s_and_saveexec_b64 s[24:25], s[12:13]
	s_cbranch_execnz .LBB29_21
	s_branch .LBB29_22
.LBB29_19:                              ;   in Loop: Header=BB29_8 Depth=1
	s_mov_b64 s[12:13], 0
                                        ; implicit-def: $vgpr10_vgpr11
	s_cbranch_execz .LBB29_18
.LBB29_20:                              ;   in Loop: Header=BB29_8 Depth=1
	s_andn2_b64 s[12:13], s[12:13], exec
	s_and_b64 s[24:25], s[6:7], exec
	s_or_b64 s[12:13], s[12:13], s[24:25]
	s_and_saveexec_b64 s[24:25], s[12:13]
.LBB29_21:                              ;   in Loop: Header=BB29_8 Depth=1
	ds_write_b64 v22, v[6:7] offset:16384
.LBB29_22:                              ;   in Loop: Header=BB29_8 Depth=1
	s_or_b64 exec, exec, s[24:25]
	s_waitcnt lgkmcnt(0)
	s_barrier
	s_and_saveexec_b64 s[12:13], s[8:9]
	s_cbranch_execz .LBB29_7
; %bb.23:                               ;   in Loop: Header=BB29_8 Depth=1
	global_load_dwordx2 v[8:9], v22, s[0:1]
	ds_read_b64 v[10:11], v22 offset:16384
	s_mov_b64 s[24:25], 0
	v_mov_b32_e32 v26, v12
	v_mov_b64_e32 v[6:7], v[2:3]
	s_waitcnt vmcnt(0) lgkmcnt(0)
	v_mul_f64 v[8:9], v[10:11], -v[8:9]
	v_mov_b64_e32 v[10:11], v[0:1]
.LBB29_24:                              ;   Parent Loop BB29_8 Depth=1
                                        ; =>  This Inner Loop Header: Depth=2
	global_load_dwordx2 v[28:29], v[6:7], off
	ds_read_b64 v[30:31], v26
	v_lshl_add_u64 v[10:11], v[10:11], 0, s[20:21]
	v_cmp_le_i64_e32 vcc, s[14:15], v[10:11]
	s_or_b64 s[24:25], vcc, s[24:25]
	v_add_u32_e32 v26, 0x2000, v26
	s_waitcnt vmcnt(0) lgkmcnt(0)
	v_fmac_f64_e32 v[28:29], v[8:9], v[30:31]
	global_store_dwordx2 v[6:7], v[28:29], off
	v_lshl_add_u64 v[6:7], v[6:7], 0, s[16:17]
	s_andn2_b64 exec, exec, s[24:25]
	s_cbranch_execnz .LBB29_24
	s_branch .LBB29_7
.LBB29_25:
	s_endpgm
	.section	.rodata,"a",@progbits
	.p2align	6, 0x0
	.amdhsa_kernel _ZN9rocsolver6v33100L23larf_right_kernel_smallILi1024EdlPdEEvT1_S3_T2_lS3_lPKT0_lS4_lS3_l
		.amdhsa_group_segment_fixed_size 16512
		.amdhsa_private_segment_fixed_size 0
		.amdhsa_kernarg_size 96
		.amdhsa_user_sgpr_count 2
		.amdhsa_user_sgpr_dispatch_ptr 0
		.amdhsa_user_sgpr_queue_ptr 0
		.amdhsa_user_sgpr_kernarg_segment_ptr 1
		.amdhsa_user_sgpr_dispatch_id 0
		.amdhsa_user_sgpr_kernarg_preload_length 0
		.amdhsa_user_sgpr_kernarg_preload_offset 0
		.amdhsa_user_sgpr_private_segment_size 0
		.amdhsa_uses_dynamic_stack 0
		.amdhsa_enable_private_segment 0
		.amdhsa_system_sgpr_workgroup_id_x 1
		.amdhsa_system_sgpr_workgroup_id_y 1
		.amdhsa_system_sgpr_workgroup_id_z 0
		.amdhsa_system_sgpr_workgroup_info 0
		.amdhsa_system_vgpr_workitem_id 0
		.amdhsa_next_free_vgpr 42
		.amdhsa_next_free_sgpr 36
		.amdhsa_accum_offset 44
		.amdhsa_reserve_vcc 1
		.amdhsa_float_round_mode_32 0
		.amdhsa_float_round_mode_16_64 0
		.amdhsa_float_denorm_mode_32 3
		.amdhsa_float_denorm_mode_16_64 3
		.amdhsa_dx10_clamp 1
		.amdhsa_ieee_mode 1
		.amdhsa_fp16_overflow 0
		.amdhsa_tg_split 0
		.amdhsa_exception_fp_ieee_invalid_op 0
		.amdhsa_exception_fp_denorm_src 0
		.amdhsa_exception_fp_ieee_div_zero 0
		.amdhsa_exception_fp_ieee_overflow 0
		.amdhsa_exception_fp_ieee_underflow 0
		.amdhsa_exception_fp_ieee_inexact 0
		.amdhsa_exception_int_div_zero 0
	.end_amdhsa_kernel
	.section	.text._ZN9rocsolver6v33100L23larf_right_kernel_smallILi1024EdlPdEEvT1_S3_T2_lS3_lPKT0_lS4_lS3_l,"axG",@progbits,_ZN9rocsolver6v33100L23larf_right_kernel_smallILi1024EdlPdEEvT1_S3_T2_lS3_lPKT0_lS4_lS3_l,comdat
.Lfunc_end29:
	.size	_ZN9rocsolver6v33100L23larf_right_kernel_smallILi1024EdlPdEEvT1_S3_T2_lS3_lPKT0_lS4_lS3_l, .Lfunc_end29-_ZN9rocsolver6v33100L23larf_right_kernel_smallILi1024EdlPdEEvT1_S3_T2_lS3_lPKT0_lS4_lS3_l
                                        ; -- End function
	.set _ZN9rocsolver6v33100L23larf_right_kernel_smallILi1024EdlPdEEvT1_S3_T2_lS3_lPKT0_lS4_lS3_l.num_vgpr, 42
	.set _ZN9rocsolver6v33100L23larf_right_kernel_smallILi1024EdlPdEEvT1_S3_T2_lS3_lPKT0_lS4_lS3_l.num_agpr, 0
	.set _ZN9rocsolver6v33100L23larf_right_kernel_smallILi1024EdlPdEEvT1_S3_T2_lS3_lPKT0_lS4_lS3_l.numbered_sgpr, 36
	.set _ZN9rocsolver6v33100L23larf_right_kernel_smallILi1024EdlPdEEvT1_S3_T2_lS3_lPKT0_lS4_lS3_l.num_named_barrier, 0
	.set _ZN9rocsolver6v33100L23larf_right_kernel_smallILi1024EdlPdEEvT1_S3_T2_lS3_lPKT0_lS4_lS3_l.private_seg_size, 0
	.set _ZN9rocsolver6v33100L23larf_right_kernel_smallILi1024EdlPdEEvT1_S3_T2_lS3_lPKT0_lS4_lS3_l.uses_vcc, 1
	.set _ZN9rocsolver6v33100L23larf_right_kernel_smallILi1024EdlPdEEvT1_S3_T2_lS3_lPKT0_lS4_lS3_l.uses_flat_scratch, 0
	.set _ZN9rocsolver6v33100L23larf_right_kernel_smallILi1024EdlPdEEvT1_S3_T2_lS3_lPKT0_lS4_lS3_l.has_dyn_sized_stack, 0
	.set _ZN9rocsolver6v33100L23larf_right_kernel_smallILi1024EdlPdEEvT1_S3_T2_lS3_lPKT0_lS4_lS3_l.has_recursion, 0
	.set _ZN9rocsolver6v33100L23larf_right_kernel_smallILi1024EdlPdEEvT1_S3_T2_lS3_lPKT0_lS4_lS3_l.has_indirect_call, 0
	.section	.AMDGPU.csdata,"",@progbits
; Kernel info:
; codeLenInByte = 1496
; TotalNumSgprs: 42
; NumVgprs: 42
; NumAgprs: 0
; TotalNumVgprs: 42
; ScratchSize: 0
; MemoryBound: 0
; FloatMode: 240
; IeeeMode: 1
; LDSByteSize: 16512 bytes/workgroup (compile time only)
; SGPRBlocks: 5
; VGPRBlocks: 5
; NumSGPRsForWavesPerEU: 42
; NumVGPRsForWavesPerEU: 42
; AccumOffset: 44
; Occupancy: 8
; WaveLimiterHint : 0
; COMPUTE_PGM_RSRC2:SCRATCH_EN: 0
; COMPUTE_PGM_RSRC2:USER_SGPR: 2
; COMPUTE_PGM_RSRC2:TRAP_HANDLER: 0
; COMPUTE_PGM_RSRC2:TGID_X_EN: 1
; COMPUTE_PGM_RSRC2:TGID_Y_EN: 1
; COMPUTE_PGM_RSRC2:TGID_Z_EN: 0
; COMPUTE_PGM_RSRC2:TIDIG_COMP_CNT: 0
; COMPUTE_PGM_RSRC3_GFX90A:ACCUM_OFFSET: 10
; COMPUTE_PGM_RSRC3_GFX90A:TG_SPLIT: 0
	.section	.text._ZN9rocsolver6v33100L22larf_left_kernel_smallILi64EdlPKPdEEvT1_S5_T2_lS5_lPKT0_lS6_lS5_l,"axG",@progbits,_ZN9rocsolver6v33100L22larf_left_kernel_smallILi64EdlPKPdEEvT1_S5_T2_lS5_lPKT0_lS6_lS5_l,comdat
	.globl	_ZN9rocsolver6v33100L22larf_left_kernel_smallILi64EdlPKPdEEvT1_S5_T2_lS5_lPKT0_lS6_lS5_l ; -- Begin function _ZN9rocsolver6v33100L22larf_left_kernel_smallILi64EdlPKPdEEvT1_S5_T2_lS5_lPKT0_lS6_lS5_l
	.p2align	8
	.type	_ZN9rocsolver6v33100L22larf_left_kernel_smallILi64EdlPKPdEEvT1_S5_T2_lS5_lPKT0_lS6_lS5_l,@function
_ZN9rocsolver6v33100L22larf_left_kernel_smallILi64EdlPKPdEEvT1_S5_T2_lS5_lPKT0_lS6_lS5_l: ; @_ZN9rocsolver6v33100L22larf_left_kernel_smallILi64EdlPKPdEEvT1_S5_T2_lS5_lPKT0_lS6_lS5_l
; %bb.0:
	s_mov_b32 s20, s3
	s_load_dwordx8 s[4:11], s[0:1], 0x0
	s_load_dwordx2 s[24:25], s[0:1], 0x20
	s_load_dwordx8 s[12:19], s[0:1], 0x30
	s_load_dwordx2 s[22:23], s[0:1], 0x50
	s_mov_b32 s3, 0
	s_lshl_b64 s[0:1], s[2:3], 3
	s_waitcnt lgkmcnt(0)
	s_add_u32 s26, s8, s0
	s_addc_u32 s27, s9, s1
	s_add_u32 s0, s16, s0
	v_cmp_gt_i64_e64 s[8:9], s[24:25], 0
	s_addc_u32 s1, s17, s1
	s_mov_b64 s[28:29], 0
	s_and_b64 vcc, exec, s[8:9]
	s_cbranch_vccnz .LBB30_2
; %bb.1:
	s_sub_u32 s3, 1, s4
	s_subb_u32 s8, 0, s5
	s_mul_i32 s8, s24, s8
	s_mul_hi_u32 s9, s24, s3
	s_add_i32 s8, s9, s8
	s_mul_i32 s9, s25, s3
	s_add_i32 s29, s8, s9
	s_mul_i32 s28, s24, s3
.LBB30_2:
	s_load_dwordx2 s[16:17], s[0:1], 0x0
	v_mov_b32_e32 v1, 0
	v_cmp_gt_i64_e64 s[0:1], s[4:5], v[0:1]
	v_lshlrev_b32_e32 v14, 3, v0
	s_and_saveexec_b64 s[8:9], s[0:1]
	s_cbranch_execz .LBB30_5
; %bb.3:
	s_load_dwordx2 s[26:27], s[26:27], 0x0
	s_lshl_b64 s[28:29], s[28:29], 3
	s_lshl_b64 s[10:11], s[10:11], 3
	v_mad_u64_u32 v[2:3], s[30:31], s24, v0, 0
	s_waitcnt lgkmcnt(0)
	s_add_u32 s3, s26, s10
	v_mov_b32_e32 v4, v3
	s_addc_u32 s11, s27, s11
	v_mad_u64_u32 v[4:5], s[30:31], s25, v0, v[4:5]
	s_add_u32 s10, s3, s28
	v_mov_b32_e32 v3, v4
	s_addc_u32 s11, s11, s29
	v_lshl_add_u64 v[2:3], v[2:3], 3, s[10:11]
	s_lshl_b64 s[10:11], s[24:25], 9
	v_lshlrev_b32_e32 v6, 3, v0
	s_mov_b64 s[24:25], 0
	v_mov_b64_e32 v[4:5], v[0:1]
.LBB30_4:                               ; =>This Inner Loop Header: Depth=1
	flat_load_dwordx2 v[8:9], v[2:3]
	v_lshl_add_u64 v[4:5], v[4:5], 0, 64
	v_cmp_le_i64_e32 vcc, s[4:5], v[4:5]
	v_lshl_add_u64 v[2:3], v[2:3], 0, s[10:11]
	s_or_b64 s[24:25], vcc, s[24:25]
	s_waitcnt vmcnt(0) lgkmcnt(0)
	ds_write_b64 v6, v[8:9]
	v_add_u32_e32 v6, 0x200, v6
	s_andn2_b64 exec, exec, s[24:25]
	s_cbranch_execnz .LBB30_4
.LBB30_5:
	s_or_b64 exec, exec, s[8:9]
	s_mov_b32 s21, 0
	v_mov_b64_e32 v[2:3], s[20:21]
	v_cmp_le_i64_e32 vcc, s[6:7], v[2:3]
	s_waitcnt lgkmcnt(0)
	; wave barrier
	s_cbranch_vccnz .LBB30_23
; %bb.6:
	s_mul_i32 s3, s15, s2
	s_mul_hi_u32 s8, s14, s2
	s_add_i32 s3, s8, s3
	s_mul_i32 s2, s14, s2
	s_lshl_b64 s[2:3], s[2:3], 3
	s_add_u32 s8, s12, s2
	s_addc_u32 s9, s13, s3
	s_cmp_gt_i32 s4, 1
	s_mul_i32 s14, s23, s20
	s_mul_hi_u32 s15, s22, s20
	s_cselect_b64 s[10:11], -1, 0
	s_add_i32 s15, s15, s14
	s_mul_i32 s14, s22, s20
	s_lshl_b64 s[14:15], s[14:15], 3
	s_lshl_b64 s[18:19], s[18:19], 3
	s_add_u32 s14, s14, s18
	s_addc_u32 s15, s15, s19
	s_add_u32 s14, s16, s14
	v_lshlrev_b32_e32 v2, 3, v0
	v_mov_b32_e32 v3, 0
	s_addc_u32 s15, s17, s15
	v_lshl_add_u64 v[4:5], s[14:15], 0, v[2:3]
	v_mbcnt_lo_u32_b32 v2, -1, 0
	v_mbcnt_hi_u32_b32 v2, -1, v2
	v_mov_b32_e32 v8, 0x80
	v_cmp_gt_i32_e64 s[2:3], s4, v0
	v_cmp_eq_u32_e64 s[12:13], 0, v0
	v_lshrrev_b32_e32 v15, 3, v0
	s_lshl_b64 s[14:15], s[22:23], 9
	s_mov_b64 s[16:17], 0x200
	v_mov_b64_e32 v[6:7], s[6:7]
	v_and_b32_e32 v16, 63, v2
	v_lshl_or_b32 v17, v2, 2, v8
	s_branch .LBB30_8
.LBB30_7:                               ;   in Loop: Header=BB30_8 Depth=1
	s_or_b64 exec, exec, s[6:7]
	s_add_u32 s20, s20, 64
	s_addc_u32 s21, s21, 0
	v_cmp_ge_i64_e32 vcc, s[20:21], v[6:7]
	v_lshl_add_u64 v[4:5], v[4:5], 0, s[14:15]
	s_cbranch_vccnz .LBB30_23
.LBB30_8:                               ; =>This Loop Header: Depth=1
                                        ;     Child Loop BB30_10 Depth 2
                                        ;     Child Loop BB30_22 Depth 2
	v_mov_b64_e32 v[8:9], 0
	s_and_saveexec_b64 s[6:7], s[2:3]
	s_cbranch_execz .LBB30_12
; %bb.9:                                ;   in Loop: Header=BB30_8 Depth=1
	v_mov_b64_e32 v[8:9], 0
	s_mov_b64 s[18:19], 0
	v_mov_b64_e32 v[10:11], v[4:5]
	v_mov_b32_e32 v12, v14
	v_mov_b32_e32 v13, v0
.LBB30_10:                              ;   Parent Loop BB30_8 Depth=1
                                        ; =>  This Inner Loop Header: Depth=2
	flat_load_dwordx2 v[18:19], v[10:11]
	ds_read_b64 v[20:21], v12
	v_add_u32_e32 v13, 64, v13
	v_cmp_le_i32_e32 vcc, s4, v13
	v_add_u32_e32 v12, 0x200, v12
	v_lshl_add_u64 v[10:11], v[10:11], 0, s[16:17]
	s_or_b64 s[18:19], vcc, s[18:19]
	s_waitcnt vmcnt(0) lgkmcnt(0)
	v_fmac_f64_e32 v[8:9], v[20:21], v[18:19]
	s_andn2_b64 exec, exec, s[18:19]
	s_cbranch_execnz .LBB30_10
; %bb.11:                               ;   in Loop: Header=BB30_8 Depth=1
	s_or_b64 exec, exec, s[18:19]
.LBB30_12:                              ;   in Loop: Header=BB30_8 Depth=1
	s_or_b64 exec, exec, s[6:7]
	s_and_b64 vcc, exec, s[10:11]
	s_cbranch_vccz .LBB30_17
; %bb.13:                               ;   in Loop: Header=BB30_8 Depth=1
	v_cmp_ne_u32_e32 vcc, 63, v16
	s_nop 1
	v_addc_co_u32_e32 v10, vcc, 0, v2, vcc
	v_lshlrev_b32_e32 v11, 2, v10
	ds_bpermute_b32 v10, v11, v8
	ds_bpermute_b32 v11, v11, v9
	v_cmp_gt_u32_e32 vcc, 62, v16
	s_waitcnt lgkmcnt(0)
	v_add_f64 v[10:11], v[8:9], v[10:11]
	v_cndmask_b32_e64 v12, 0, 2, vcc
	v_add_lshl_u32 v13, v12, v2, 2
	ds_bpermute_b32 v12, v13, v10
	ds_bpermute_b32 v13, v13, v11
	v_cmp_gt_u32_e32 vcc, 60, v16
	s_waitcnt lgkmcnt(0)
	v_add_f64 v[10:11], v[10:11], v[12:13]
	v_cndmask_b32_e64 v12, 0, 4, vcc
	v_add_lshl_u32 v13, v12, v2, 2
	;; [unrolled: 7-line block ×4, first 2 shown]
	ds_bpermute_b32 v12, v13, v10
	ds_bpermute_b32 v13, v13, v11
	s_waitcnt lgkmcnt(0)
	v_add_f64 v[10:11], v[10:11], v[12:13]
	ds_bpermute_b32 v12, v17, v10
	ds_bpermute_b32 v13, v17, v11
	s_waitcnt lgkmcnt(0)
	v_add_f64 v[10:11], v[10:11], v[12:13]
	s_and_saveexec_b64 s[6:7], s[12:13]
; %bb.14:                               ;   in Loop: Header=BB30_8 Depth=1
	ds_write_b64 v15, v[10:11] offset:16384
; %bb.15:                               ;   in Loop: Header=BB30_8 Depth=1
	s_or_b64 exec, exec, s[6:7]
	s_waitcnt lgkmcnt(0)
	; wave barrier
	s_mov_b64 s[6:7], s[12:13]
.LBB30_16:                              ;   in Loop: Header=BB30_8 Depth=1
	v_mov_b64_e32 v[8:9], v[10:11]
	s_and_saveexec_b64 s[18:19], s[6:7]
	s_cbranch_execnz .LBB30_19
	s_branch .LBB30_20
.LBB30_17:                              ;   in Loop: Header=BB30_8 Depth=1
	s_mov_b64 s[6:7], 0
                                        ; implicit-def: $vgpr10_vgpr11
	s_cbranch_execz .LBB30_16
; %bb.18:                               ;   in Loop: Header=BB30_8 Depth=1
	s_andn2_b64 s[6:7], s[6:7], exec
	s_and_b64 s[18:19], s[12:13], exec
	s_or_b64 s[6:7], s[6:7], s[18:19]
	s_and_saveexec_b64 s[18:19], s[6:7]
.LBB30_19:                              ;   in Loop: Header=BB30_8 Depth=1
	ds_write_b64 v3, v[8:9] offset:16384
.LBB30_20:                              ;   in Loop: Header=BB30_8 Depth=1
	s_or_b64 exec, exec, s[18:19]
	s_waitcnt lgkmcnt(0)
	; wave barrier
	s_and_saveexec_b64 s[6:7], s[0:1]
	s_cbranch_execz .LBB30_7
; %bb.21:                               ;   in Loop: Header=BB30_8 Depth=1
	global_load_dwordx2 v[10:11], v3, s[8:9]
	ds_read_b64 v[12:13], v3 offset:16384
	s_mov_b64 s[18:19], 0
	v_mov_b64_e32 v[8:9], v[4:5]
	v_mov_b32_e32 v18, v14
	s_waitcnt vmcnt(0) lgkmcnt(0)
	v_mul_f64 v[10:11], v[12:13], -v[10:11]
	v_mov_b64_e32 v[12:13], v[0:1]
.LBB30_22:                              ;   Parent Loop BB30_8 Depth=1
                                        ; =>  This Inner Loop Header: Depth=2
	flat_load_dwordx2 v[20:21], v[8:9]
	ds_read_b64 v[22:23], v18
	v_lshl_add_u64 v[12:13], v[12:13], 0, 64
	v_cmp_le_i64_e32 vcc, s[4:5], v[12:13]
	v_add_u32_e32 v18, 0x200, v18
	s_or_b64 s[18:19], vcc, s[18:19]
	s_waitcnt vmcnt(0) lgkmcnt(0)
	v_fmac_f64_e32 v[20:21], v[10:11], v[22:23]
	flat_store_dwordx2 v[8:9], v[20:21]
	v_lshl_add_u64 v[8:9], v[8:9], 0, s[16:17]
	s_andn2_b64 exec, exec, s[18:19]
	s_cbranch_execnz .LBB30_22
	s_branch .LBB30_7
.LBB30_23:
	s_endpgm
	.section	.rodata,"a",@progbits
	.p2align	6, 0x0
	.amdhsa_kernel _ZN9rocsolver6v33100L22larf_left_kernel_smallILi64EdlPKPdEEvT1_S5_T2_lS5_lPKT0_lS6_lS5_l
		.amdhsa_group_segment_fixed_size 16896
		.amdhsa_private_segment_fixed_size 0
		.amdhsa_kernarg_size 96
		.amdhsa_user_sgpr_count 2
		.amdhsa_user_sgpr_dispatch_ptr 0
		.amdhsa_user_sgpr_queue_ptr 0
		.amdhsa_user_sgpr_kernarg_segment_ptr 1
		.amdhsa_user_sgpr_dispatch_id 0
		.amdhsa_user_sgpr_kernarg_preload_length 0
		.amdhsa_user_sgpr_kernarg_preload_offset 0
		.amdhsa_user_sgpr_private_segment_size 0
		.amdhsa_uses_dynamic_stack 0
		.amdhsa_enable_private_segment 0
		.amdhsa_system_sgpr_workgroup_id_x 1
		.amdhsa_system_sgpr_workgroup_id_y 1
		.amdhsa_system_sgpr_workgroup_id_z 0
		.amdhsa_system_sgpr_workgroup_info 0
		.amdhsa_system_vgpr_workitem_id 0
		.amdhsa_next_free_vgpr 129
		.amdhsa_next_free_sgpr 96
		.amdhsa_accum_offset 24
		.amdhsa_reserve_vcc 1
		.amdhsa_float_round_mode_32 0
		.amdhsa_float_round_mode_16_64 0
		.amdhsa_float_denorm_mode_32 3
		.amdhsa_float_denorm_mode_16_64 3
		.amdhsa_dx10_clamp 1
		.amdhsa_ieee_mode 1
		.amdhsa_fp16_overflow 0
		.amdhsa_tg_split 0
		.amdhsa_exception_fp_ieee_invalid_op 0
		.amdhsa_exception_fp_denorm_src 0
		.amdhsa_exception_fp_ieee_div_zero 0
		.amdhsa_exception_fp_ieee_overflow 0
		.amdhsa_exception_fp_ieee_underflow 0
		.amdhsa_exception_fp_ieee_inexact 0
		.amdhsa_exception_int_div_zero 0
	.end_amdhsa_kernel
	.section	.text._ZN9rocsolver6v33100L22larf_left_kernel_smallILi64EdlPKPdEEvT1_S5_T2_lS5_lPKT0_lS6_lS5_l,"axG",@progbits,_ZN9rocsolver6v33100L22larf_left_kernel_smallILi64EdlPKPdEEvT1_S5_T2_lS5_lPKT0_lS6_lS5_l,comdat
.Lfunc_end30:
	.size	_ZN9rocsolver6v33100L22larf_left_kernel_smallILi64EdlPKPdEEvT1_S5_T2_lS5_lPKT0_lS6_lS5_l, .Lfunc_end30-_ZN9rocsolver6v33100L22larf_left_kernel_smallILi64EdlPKPdEEvT1_S5_T2_lS5_lPKT0_lS6_lS5_l
                                        ; -- End function
	.set _ZN9rocsolver6v33100L22larf_left_kernel_smallILi64EdlPKPdEEvT1_S5_T2_lS5_lPKT0_lS6_lS5_l.num_vgpr, 24
	.set _ZN9rocsolver6v33100L22larf_left_kernel_smallILi64EdlPKPdEEvT1_S5_T2_lS5_lPKT0_lS6_lS5_l.num_agpr, 0
	.set _ZN9rocsolver6v33100L22larf_left_kernel_smallILi64EdlPKPdEEvT1_S5_T2_lS5_lPKT0_lS6_lS5_l.numbered_sgpr, 32
	.set _ZN9rocsolver6v33100L22larf_left_kernel_smallILi64EdlPKPdEEvT1_S5_T2_lS5_lPKT0_lS6_lS5_l.num_named_barrier, 0
	.set _ZN9rocsolver6v33100L22larf_left_kernel_smallILi64EdlPKPdEEvT1_S5_T2_lS5_lPKT0_lS6_lS5_l.private_seg_size, 0
	.set _ZN9rocsolver6v33100L22larf_left_kernel_smallILi64EdlPKPdEEvT1_S5_T2_lS5_lPKT0_lS6_lS5_l.uses_vcc, 1
	.set _ZN9rocsolver6v33100L22larf_left_kernel_smallILi64EdlPKPdEEvT1_S5_T2_lS5_lPKT0_lS6_lS5_l.uses_flat_scratch, 0
	.set _ZN9rocsolver6v33100L22larf_left_kernel_smallILi64EdlPKPdEEvT1_S5_T2_lS5_lPKT0_lS6_lS5_l.has_dyn_sized_stack, 0
	.set _ZN9rocsolver6v33100L22larf_left_kernel_smallILi64EdlPKPdEEvT1_S5_T2_lS5_lPKT0_lS6_lS5_l.has_recursion, 0
	.set _ZN9rocsolver6v33100L22larf_left_kernel_smallILi64EdlPKPdEEvT1_S5_T2_lS5_lPKT0_lS6_lS5_l.has_indirect_call, 0
	.section	.AMDGPU.csdata,"",@progbits
; Kernel info:
; codeLenInByte = 1096
; TotalNumSgprs: 38
; NumVgprs: 24
; NumAgprs: 0
; TotalNumVgprs: 24
; ScratchSize: 0
; MemoryBound: 0
; FloatMode: 240
; IeeeMode: 1
; LDSByteSize: 16896 bytes/workgroup (compile time only)
; SGPRBlocks: 12
; VGPRBlocks: 16
; NumSGPRsForWavesPerEU: 102
; NumVGPRsForWavesPerEU: 129
; AccumOffset: 24
; Occupancy: 3
; WaveLimiterHint : 0
; COMPUTE_PGM_RSRC2:SCRATCH_EN: 0
; COMPUTE_PGM_RSRC2:USER_SGPR: 2
; COMPUTE_PGM_RSRC2:TRAP_HANDLER: 0
; COMPUTE_PGM_RSRC2:TGID_X_EN: 1
; COMPUTE_PGM_RSRC2:TGID_Y_EN: 1
; COMPUTE_PGM_RSRC2:TGID_Z_EN: 0
; COMPUTE_PGM_RSRC2:TIDIG_COMP_CNT: 0
; COMPUTE_PGM_RSRC3_GFX90A:ACCUM_OFFSET: 5
; COMPUTE_PGM_RSRC3_GFX90A:TG_SPLIT: 0
	.section	.text._ZN9rocsolver6v33100L22larf_left_kernel_smallILi128EdlPKPdEEvT1_S5_T2_lS5_lPKT0_lS6_lS5_l,"axG",@progbits,_ZN9rocsolver6v33100L22larf_left_kernel_smallILi128EdlPKPdEEvT1_S5_T2_lS5_lPKT0_lS6_lS5_l,comdat
	.globl	_ZN9rocsolver6v33100L22larf_left_kernel_smallILi128EdlPKPdEEvT1_S5_T2_lS5_lPKT0_lS6_lS5_l ; -- Begin function _ZN9rocsolver6v33100L22larf_left_kernel_smallILi128EdlPKPdEEvT1_S5_T2_lS5_lPKT0_lS6_lS5_l
	.p2align	8
	.type	_ZN9rocsolver6v33100L22larf_left_kernel_smallILi128EdlPKPdEEvT1_S5_T2_lS5_lPKT0_lS6_lS5_l,@function
_ZN9rocsolver6v33100L22larf_left_kernel_smallILi128EdlPKPdEEvT1_S5_T2_lS5_lPKT0_lS6_lS5_l: ; @_ZN9rocsolver6v33100L22larf_left_kernel_smallILi128EdlPKPdEEvT1_S5_T2_lS5_lPKT0_lS6_lS5_l
; %bb.0:
	s_mov_b32 s24, s3
	s_load_dwordx8 s[8:15], s[0:1], 0x0
	s_load_dwordx2 s[4:5], s[0:1], 0x20
	s_load_dwordx8 s[16:23], s[0:1], 0x30
	s_load_dwordx2 s[26:27], s[0:1], 0x50
	s_mov_b32 s3, 0
	s_lshl_b64 s[0:1], s[2:3], 3
	s_waitcnt lgkmcnt(0)
	s_add_u32 s12, s12, s0
	s_addc_u32 s13, s13, s1
	s_add_u32 s0, s20, s0
	v_cmp_gt_i64_e64 s[6:7], s[4:5], 0
	s_addc_u32 s1, s21, s1
	s_mov_b64 s[28:29], 0
	s_and_b64 vcc, exec, s[6:7]
	s_cbranch_vccnz .LBB31_2
; %bb.1:
	s_sub_u32 s3, 1, s8
	s_subb_u32 s6, 0, s9
	s_mul_i32 s6, s4, s6
	s_mul_hi_u32 s7, s4, s3
	s_add_i32 s6, s7, s6
	s_mul_i32 s7, s5, s3
	s_add_i32 s29, s6, s7
	s_mul_i32 s28, s4, s3
.LBB31_2:
	s_load_dwordx2 s[20:21], s[0:1], 0x0
	v_mov_b32_e32 v1, 0
	v_cmp_gt_i64_e64 s[0:1], s[8:9], v[0:1]
	v_lshlrev_b32_e32 v14, 3, v0
	s_and_saveexec_b64 s[6:7], s[0:1]
	s_cbranch_execz .LBB31_5
; %bb.3:
	s_load_dwordx2 s[12:13], s[12:13], 0x0
	s_lshl_b64 s[28:29], s[28:29], 3
	s_lshl_b64 s[14:15], s[14:15], 3
	v_mad_u64_u32 v[2:3], s[30:31], s4, v0, 0
	s_waitcnt lgkmcnt(0)
	s_add_u32 s3, s12, s14
	v_mov_b32_e32 v4, v3
	s_addc_u32 s13, s13, s15
	v_mad_u64_u32 v[4:5], s[30:31], s5, v0, v[4:5]
	s_add_u32 s12, s3, s28
	v_mov_b32_e32 v3, v4
	s_addc_u32 s13, s13, s29
	v_lshl_add_u64 v[2:3], v[2:3], 3, s[12:13]
	s_lshl_b64 s[4:5], s[4:5], 10
	v_lshlrev_b32_e32 v6, 3, v0
	s_mov_b64 s[12:13], 0
	s_mov_b64 s[14:15], 0x80
	v_mov_b64_e32 v[4:5], v[0:1]
.LBB31_4:                               ; =>This Inner Loop Header: Depth=1
	flat_load_dwordx2 v[8:9], v[2:3]
	v_lshl_add_u64 v[4:5], v[4:5], 0, s[14:15]
	v_cmp_le_i64_e32 vcc, s[8:9], v[4:5]
	v_lshl_add_u64 v[2:3], v[2:3], 0, s[4:5]
	s_or_b64 s[12:13], vcc, s[12:13]
	s_waitcnt vmcnt(0) lgkmcnt(0)
	ds_write_b64 v6, v[8:9]
	v_add_u32_e32 v6, 0x400, v6
	s_andn2_b64 exec, exec, s[12:13]
	s_cbranch_execnz .LBB31_4
.LBB31_5:
	s_or_b64 exec, exec, s[6:7]
	s_mov_b32 s25, 0
	v_mov_b64_e32 v[2:3], s[24:25]
	v_cmp_le_i64_e32 vcc, s[10:11], v[2:3]
	s_waitcnt lgkmcnt(0)
	s_barrier
	s_cbranch_vccnz .LBB31_25
; %bb.6:
	s_mul_i32 s3, s19, s2
	s_mul_hi_u32 s4, s18, s2
	s_add_i32 s3, s4, s3
	s_mul_i32 s2, s18, s2
	s_lshl_b64 s[2:3], s[2:3], 3
	s_add_u32 s12, s16, s2
	s_addc_u32 s13, s17, s3
	s_cmp_gt_i32 s8, 1
	s_mul_i32 s16, s27, s24
	s_mul_hi_u32 s17, s26, s24
	s_cselect_b64 s[14:15], -1, 0
	s_add_i32 s17, s17, s16
	s_mul_i32 s16, s26, s24
	s_lshl_b64 s[16:17], s[16:17], 3
	s_lshl_b64 s[18:19], s[22:23], 3
	s_add_u32 s16, s16, s18
	s_addc_u32 s17, s17, s19
	v_and_b32_e32 v2, 63, v0
	s_add_u32 s16, s20, s16
	v_cmp_eq_u32_e64 s[4:5], 0, v2
	v_lshlrev_b32_e32 v2, 3, v0
	v_mov_b32_e32 v3, 0
	s_addc_u32 s17, s21, s17
	v_lshl_add_u64 v[4:5], s[16:17], 0, v[2:3]
	v_mbcnt_lo_u32_b32 v2, -1, 0
	v_mbcnt_hi_u32_b32 v2, -1, v2
	v_mov_b32_e32 v8, 0x80
	v_cmp_gt_i32_e64 s[2:3], s8, v0
	v_lshrrev_b32_e32 v15, 3, v0
	v_cmp_eq_u32_e64 s[6:7], 0, v0
	s_lshl_b64 s[16:17], s[26:27], 9
	s_mov_b64 s[18:19], 0x400
	s_mov_b64 s[20:21], 0x80
	v_mov_b64_e32 v[6:7], s[10:11]
	v_and_b32_e32 v16, 63, v2
	v_lshl_or_b32 v17, v2, 2, v8
	s_branch .LBB31_8
.LBB31_7:                               ;   in Loop: Header=BB31_8 Depth=1
	s_or_b64 exec, exec, s[10:11]
	s_add_u32 s24, s24, 64
	s_addc_u32 s25, s25, 0
	v_cmp_ge_i64_e32 vcc, s[24:25], v[6:7]
	v_lshl_add_u64 v[4:5], v[4:5], 0, s[16:17]
	s_cbranch_vccnz .LBB31_25
.LBB31_8:                               ; =>This Loop Header: Depth=1
                                        ;     Child Loop BB31_10 Depth 2
                                        ;     Child Loop BB31_24 Depth 2
	v_mov_b64_e32 v[8:9], 0
	s_and_saveexec_b64 s[10:11], s[2:3]
	s_cbranch_execz .LBB31_12
; %bb.9:                                ;   in Loop: Header=BB31_8 Depth=1
	v_mov_b64_e32 v[8:9], 0
	s_mov_b64 s[22:23], 0
	v_mov_b64_e32 v[10:11], v[4:5]
	v_mov_b32_e32 v12, v14
	v_mov_b32_e32 v13, v0
.LBB31_10:                              ;   Parent Loop BB31_8 Depth=1
                                        ; =>  This Inner Loop Header: Depth=2
	flat_load_dwordx2 v[18:19], v[10:11]
	ds_read_b64 v[20:21], v12
	v_add_u32_e32 v13, 0x80, v13
	v_cmp_le_i32_e32 vcc, s8, v13
	v_add_u32_e32 v12, 0x400, v12
	v_lshl_add_u64 v[10:11], v[10:11], 0, s[18:19]
	s_or_b64 s[22:23], vcc, s[22:23]
	s_waitcnt vmcnt(0) lgkmcnt(0)
	v_fmac_f64_e32 v[8:9], v[20:21], v[18:19]
	s_andn2_b64 exec, exec, s[22:23]
	s_cbranch_execnz .LBB31_10
; %bb.11:                               ;   in Loop: Header=BB31_8 Depth=1
	s_or_b64 exec, exec, s[22:23]
.LBB31_12:                              ;   in Loop: Header=BB31_8 Depth=1
	s_or_b64 exec, exec, s[10:11]
	s_and_b64 vcc, exec, s[14:15]
	s_cbranch_vccz .LBB31_19
; %bb.13:                               ;   in Loop: Header=BB31_8 Depth=1
	v_cmp_ne_u32_e32 vcc, 63, v16
	s_nop 1
	v_addc_co_u32_e32 v10, vcc, 0, v2, vcc
	v_lshlrev_b32_e32 v11, 2, v10
	ds_bpermute_b32 v10, v11, v8
	ds_bpermute_b32 v11, v11, v9
	v_cmp_gt_u32_e32 vcc, 62, v16
	s_waitcnt lgkmcnt(0)
	v_add_f64 v[10:11], v[8:9], v[10:11]
	v_cndmask_b32_e64 v12, 0, 2, vcc
	v_add_lshl_u32 v13, v12, v2, 2
	ds_bpermute_b32 v12, v13, v10
	ds_bpermute_b32 v13, v13, v11
	v_cmp_gt_u32_e32 vcc, 60, v16
	s_waitcnt lgkmcnt(0)
	v_add_f64 v[10:11], v[10:11], v[12:13]
	v_cndmask_b32_e64 v12, 0, 4, vcc
	v_add_lshl_u32 v13, v12, v2, 2
	;; [unrolled: 7-line block ×4, first 2 shown]
	ds_bpermute_b32 v12, v13, v10
	ds_bpermute_b32 v13, v13, v11
	s_waitcnt lgkmcnt(0)
	v_add_f64 v[10:11], v[10:11], v[12:13]
	ds_bpermute_b32 v12, v17, v10
	ds_bpermute_b32 v13, v17, v11
	s_waitcnt lgkmcnt(0)
	v_add_f64 v[12:13], v[10:11], v[12:13]
	s_and_saveexec_b64 s[10:11], s[4:5]
; %bb.14:                               ;   in Loop: Header=BB31_8 Depth=1
	ds_write_b64 v15, v[12:13] offset:16384
; %bb.15:                               ;   in Loop: Header=BB31_8 Depth=1
	s_or_b64 exec, exec, s[10:11]
	s_mov_b64 s[22:23], 0
	s_mov_b64 s[10:11], 0
	s_waitcnt lgkmcnt(0)
	s_barrier
                                        ; implicit-def: $vgpr10_vgpr11
	s_and_saveexec_b64 s[26:27], s[6:7]
	s_xor_b64 s[26:27], exec, s[26:27]
	s_cbranch_execz .LBB31_17
; %bb.16:                               ;   in Loop: Header=BB31_8 Depth=1
	ds_read_b64 v[10:11], v3 offset:16392
	s_mov_b64 s[10:11], exec
	s_waitcnt lgkmcnt(0)
	v_add_f64 v[10:11], v[12:13], v[10:11]
.LBB31_17:                              ;   in Loop: Header=BB31_8 Depth=1
	s_or_b64 exec, exec, s[26:27]
	s_and_b64 vcc, exec, s[22:23]
	s_cbranch_vccnz .LBB31_20
.LBB31_18:                              ;   in Loop: Header=BB31_8 Depth=1
	v_mov_b64_e32 v[8:9], v[10:11]
	s_and_saveexec_b64 s[22:23], s[10:11]
	s_cbranch_execnz .LBB31_21
	s_branch .LBB31_22
.LBB31_19:                              ;   in Loop: Header=BB31_8 Depth=1
	s_mov_b64 s[10:11], 0
                                        ; implicit-def: $vgpr10_vgpr11
	s_cbranch_execz .LBB31_18
.LBB31_20:                              ;   in Loop: Header=BB31_8 Depth=1
	s_andn2_b64 s[10:11], s[10:11], exec
	s_and_b64 s[22:23], s[6:7], exec
	s_or_b64 s[10:11], s[10:11], s[22:23]
	s_and_saveexec_b64 s[22:23], s[10:11]
.LBB31_21:                              ;   in Loop: Header=BB31_8 Depth=1
	ds_write_b64 v3, v[8:9] offset:16384
.LBB31_22:                              ;   in Loop: Header=BB31_8 Depth=1
	s_or_b64 exec, exec, s[22:23]
	s_waitcnt lgkmcnt(0)
	s_barrier
	s_and_saveexec_b64 s[10:11], s[0:1]
	s_cbranch_execz .LBB31_7
; %bb.23:                               ;   in Loop: Header=BB31_8 Depth=1
	global_load_dwordx2 v[10:11], v3, s[12:13]
	ds_read_b64 v[12:13], v3 offset:16384
	s_mov_b64 s[22:23], 0
	v_mov_b64_e32 v[8:9], v[4:5]
	v_mov_b32_e32 v18, v14
	s_waitcnt vmcnt(0) lgkmcnt(0)
	v_mul_f64 v[10:11], v[12:13], -v[10:11]
	v_mov_b64_e32 v[12:13], v[0:1]
.LBB31_24:                              ;   Parent Loop BB31_8 Depth=1
                                        ; =>  This Inner Loop Header: Depth=2
	flat_load_dwordx2 v[20:21], v[8:9]
	ds_read_b64 v[22:23], v18
	v_lshl_add_u64 v[12:13], v[12:13], 0, s[20:21]
	v_cmp_le_i64_e32 vcc, s[8:9], v[12:13]
	v_add_u32_e32 v18, 0x400, v18
	s_or_b64 s[22:23], vcc, s[22:23]
	s_waitcnt vmcnt(0) lgkmcnt(0)
	v_fmac_f64_e32 v[20:21], v[10:11], v[22:23]
	flat_store_dwordx2 v[8:9], v[20:21]
	v_lshl_add_u64 v[8:9], v[8:9], 0, s[18:19]
	s_andn2_b64 exec, exec, s[22:23]
	s_cbranch_execnz .LBB31_24
	s_branch .LBB31_7
.LBB31_25:
	s_endpgm
	.section	.rodata,"a",@progbits
	.p2align	6, 0x0
	.amdhsa_kernel _ZN9rocsolver6v33100L22larf_left_kernel_smallILi128EdlPKPdEEvT1_S5_T2_lS5_lPKT0_lS6_lS5_l
		.amdhsa_group_segment_fixed_size 17408
		.amdhsa_private_segment_fixed_size 0
		.amdhsa_kernarg_size 96
		.amdhsa_user_sgpr_count 2
		.amdhsa_user_sgpr_dispatch_ptr 0
		.amdhsa_user_sgpr_queue_ptr 0
		.amdhsa_user_sgpr_kernarg_segment_ptr 1
		.amdhsa_user_sgpr_dispatch_id 0
		.amdhsa_user_sgpr_kernarg_preload_length 0
		.amdhsa_user_sgpr_kernarg_preload_offset 0
		.amdhsa_user_sgpr_private_segment_size 0
		.amdhsa_uses_dynamic_stack 0
		.amdhsa_enable_private_segment 0
		.amdhsa_system_sgpr_workgroup_id_x 1
		.amdhsa_system_sgpr_workgroup_id_y 1
		.amdhsa_system_sgpr_workgroup_id_z 0
		.amdhsa_system_sgpr_workgroup_info 0
		.amdhsa_system_vgpr_workitem_id 0
		.amdhsa_next_free_vgpr 81
		.amdhsa_next_free_sgpr 96
		.amdhsa_accum_offset 24
		.amdhsa_reserve_vcc 1
		.amdhsa_float_round_mode_32 0
		.amdhsa_float_round_mode_16_64 0
		.amdhsa_float_denorm_mode_32 3
		.amdhsa_float_denorm_mode_16_64 3
		.amdhsa_dx10_clamp 1
		.amdhsa_ieee_mode 1
		.amdhsa_fp16_overflow 0
		.amdhsa_tg_split 0
		.amdhsa_exception_fp_ieee_invalid_op 0
		.amdhsa_exception_fp_denorm_src 0
		.amdhsa_exception_fp_ieee_div_zero 0
		.amdhsa_exception_fp_ieee_overflow 0
		.amdhsa_exception_fp_ieee_underflow 0
		.amdhsa_exception_fp_ieee_inexact 0
		.amdhsa_exception_int_div_zero 0
	.end_amdhsa_kernel
	.section	.text._ZN9rocsolver6v33100L22larf_left_kernel_smallILi128EdlPKPdEEvT1_S5_T2_lS5_lPKT0_lS6_lS5_l,"axG",@progbits,_ZN9rocsolver6v33100L22larf_left_kernel_smallILi128EdlPKPdEEvT1_S5_T2_lS5_lPKT0_lS6_lS5_l,comdat
.Lfunc_end31:
	.size	_ZN9rocsolver6v33100L22larf_left_kernel_smallILi128EdlPKPdEEvT1_S5_T2_lS5_lPKT0_lS6_lS5_l, .Lfunc_end31-_ZN9rocsolver6v33100L22larf_left_kernel_smallILi128EdlPKPdEEvT1_S5_T2_lS5_lPKT0_lS6_lS5_l
                                        ; -- End function
	.set _ZN9rocsolver6v33100L22larf_left_kernel_smallILi128EdlPKPdEEvT1_S5_T2_lS5_lPKT0_lS6_lS5_l.num_vgpr, 24
	.set _ZN9rocsolver6v33100L22larf_left_kernel_smallILi128EdlPKPdEEvT1_S5_T2_lS5_lPKT0_lS6_lS5_l.num_agpr, 0
	.set _ZN9rocsolver6v33100L22larf_left_kernel_smallILi128EdlPKPdEEvT1_S5_T2_lS5_lPKT0_lS6_lS5_l.numbered_sgpr, 32
	.set _ZN9rocsolver6v33100L22larf_left_kernel_smallILi128EdlPKPdEEvT1_S5_T2_lS5_lPKT0_lS6_lS5_l.num_named_barrier, 0
	.set _ZN9rocsolver6v33100L22larf_left_kernel_smallILi128EdlPKPdEEvT1_S5_T2_lS5_lPKT0_lS6_lS5_l.private_seg_size, 0
	.set _ZN9rocsolver6v33100L22larf_left_kernel_smallILi128EdlPKPdEEvT1_S5_T2_lS5_lPKT0_lS6_lS5_l.uses_vcc, 1
	.set _ZN9rocsolver6v33100L22larf_left_kernel_smallILi128EdlPKPdEEvT1_S5_T2_lS5_lPKT0_lS6_lS5_l.uses_flat_scratch, 0
	.set _ZN9rocsolver6v33100L22larf_left_kernel_smallILi128EdlPKPdEEvT1_S5_T2_lS5_lPKT0_lS6_lS5_l.has_dyn_sized_stack, 0
	.set _ZN9rocsolver6v33100L22larf_left_kernel_smallILi128EdlPKPdEEvT1_S5_T2_lS5_lPKT0_lS6_lS5_l.has_recursion, 0
	.set _ZN9rocsolver6v33100L22larf_left_kernel_smallILi128EdlPKPdEEvT1_S5_T2_lS5_lPKT0_lS6_lS5_l.has_indirect_call, 0
	.section	.AMDGPU.csdata,"",@progbits
; Kernel info:
; codeLenInByte = 1192
; TotalNumSgprs: 38
; NumVgprs: 24
; NumAgprs: 0
; TotalNumVgprs: 24
; ScratchSize: 0
; MemoryBound: 0
; FloatMode: 240
; IeeeMode: 1
; LDSByteSize: 17408 bytes/workgroup (compile time only)
; SGPRBlocks: 12
; VGPRBlocks: 10
; NumSGPRsForWavesPerEU: 102
; NumVGPRsForWavesPerEU: 81
; AccumOffset: 24
; Occupancy: 5
; WaveLimiterHint : 0
; COMPUTE_PGM_RSRC2:SCRATCH_EN: 0
; COMPUTE_PGM_RSRC2:USER_SGPR: 2
; COMPUTE_PGM_RSRC2:TRAP_HANDLER: 0
; COMPUTE_PGM_RSRC2:TGID_X_EN: 1
; COMPUTE_PGM_RSRC2:TGID_Y_EN: 1
; COMPUTE_PGM_RSRC2:TGID_Z_EN: 0
; COMPUTE_PGM_RSRC2:TIDIG_COMP_CNT: 0
; COMPUTE_PGM_RSRC3_GFX90A:ACCUM_OFFSET: 5
; COMPUTE_PGM_RSRC3_GFX90A:TG_SPLIT: 0
	.section	.text._ZN9rocsolver6v33100L22larf_left_kernel_smallILi256EdlPKPdEEvT1_S5_T2_lS5_lPKT0_lS6_lS5_l,"axG",@progbits,_ZN9rocsolver6v33100L22larf_left_kernel_smallILi256EdlPKPdEEvT1_S5_T2_lS5_lPKT0_lS6_lS5_l,comdat
	.globl	_ZN9rocsolver6v33100L22larf_left_kernel_smallILi256EdlPKPdEEvT1_S5_T2_lS5_lPKT0_lS6_lS5_l ; -- Begin function _ZN9rocsolver6v33100L22larf_left_kernel_smallILi256EdlPKPdEEvT1_S5_T2_lS5_lPKT0_lS6_lS5_l
	.p2align	8
	.type	_ZN9rocsolver6v33100L22larf_left_kernel_smallILi256EdlPKPdEEvT1_S5_T2_lS5_lPKT0_lS6_lS5_l,@function
_ZN9rocsolver6v33100L22larf_left_kernel_smallILi256EdlPKPdEEvT1_S5_T2_lS5_lPKT0_lS6_lS5_l: ; @_ZN9rocsolver6v33100L22larf_left_kernel_smallILi256EdlPKPdEEvT1_S5_T2_lS5_lPKT0_lS6_lS5_l
; %bb.0:
	s_mov_b32 s24, s3
	s_load_dwordx8 s[8:15], s[0:1], 0x0
	s_load_dwordx2 s[4:5], s[0:1], 0x20
	s_load_dwordx8 s[16:23], s[0:1], 0x30
	s_load_dwordx2 s[26:27], s[0:1], 0x50
	s_mov_b32 s3, 0
	s_lshl_b64 s[0:1], s[2:3], 3
	s_waitcnt lgkmcnt(0)
	s_add_u32 s12, s12, s0
	s_addc_u32 s13, s13, s1
	s_add_u32 s0, s20, s0
	v_cmp_gt_i64_e64 s[6:7], s[4:5], 0
	s_addc_u32 s1, s21, s1
	s_mov_b64 s[28:29], 0
	s_and_b64 vcc, exec, s[6:7]
	s_cbranch_vccnz .LBB32_2
; %bb.1:
	s_sub_u32 s3, 1, s8
	s_subb_u32 s6, 0, s9
	s_mul_i32 s6, s4, s6
	s_mul_hi_u32 s7, s4, s3
	s_add_i32 s6, s7, s6
	s_mul_i32 s7, s5, s3
	s_add_i32 s29, s6, s7
	s_mul_i32 s28, s4, s3
.LBB32_2:
	s_load_dwordx2 s[20:21], s[0:1], 0x0
	v_mov_b32_e32 v1, 0
	v_cmp_gt_i64_e64 s[0:1], s[8:9], v[0:1]
	v_lshlrev_b32_e32 v14, 3, v0
	s_and_saveexec_b64 s[6:7], s[0:1]
	s_cbranch_execz .LBB32_5
; %bb.3:
	s_load_dwordx2 s[12:13], s[12:13], 0x0
	s_lshl_b64 s[28:29], s[28:29], 3
	s_lshl_b64 s[14:15], s[14:15], 3
	v_mad_u64_u32 v[2:3], s[30:31], s4, v0, 0
	s_waitcnt lgkmcnt(0)
	s_add_u32 s3, s12, s14
	v_mov_b32_e32 v4, v3
	s_addc_u32 s13, s13, s15
	v_mad_u64_u32 v[4:5], s[30:31], s5, v0, v[4:5]
	s_add_u32 s12, s3, s28
	v_mov_b32_e32 v3, v4
	s_addc_u32 s13, s13, s29
	v_lshl_add_u64 v[2:3], v[2:3], 3, s[12:13]
	s_lshl_b64 s[4:5], s[4:5], 11
	v_lshlrev_b32_e32 v6, 3, v0
	s_mov_b64 s[12:13], 0
	s_mov_b64 s[14:15], 0x100
	v_mov_b64_e32 v[4:5], v[0:1]
.LBB32_4:                               ; =>This Inner Loop Header: Depth=1
	flat_load_dwordx2 v[8:9], v[2:3]
	v_lshl_add_u64 v[4:5], v[4:5], 0, s[14:15]
	v_cmp_le_i64_e32 vcc, s[8:9], v[4:5]
	v_lshl_add_u64 v[2:3], v[2:3], 0, s[4:5]
	s_or_b64 s[12:13], vcc, s[12:13]
	s_waitcnt vmcnt(0) lgkmcnt(0)
	ds_write_b64 v6, v[8:9]
	v_add_u32_e32 v6, 0x800, v6
	s_andn2_b64 exec, exec, s[12:13]
	s_cbranch_execnz .LBB32_4
.LBB32_5:
	s_or_b64 exec, exec, s[6:7]
	s_mov_b32 s25, 0
	v_mov_b64_e32 v[2:3], s[24:25]
	v_cmp_le_i64_e32 vcc, s[10:11], v[2:3]
	s_waitcnt lgkmcnt(0)
	s_barrier
	s_cbranch_vccnz .LBB32_25
; %bb.6:
	s_mul_i32 s3, s19, s2
	s_mul_hi_u32 s4, s18, s2
	s_add_i32 s3, s4, s3
	s_mul_i32 s2, s18, s2
	s_lshl_b64 s[2:3], s[2:3], 3
	s_add_u32 s12, s16, s2
	s_addc_u32 s13, s17, s3
	s_cmp_gt_i32 s8, 1
	s_mul_i32 s16, s27, s24
	s_mul_hi_u32 s17, s26, s24
	s_cselect_b64 s[14:15], -1, 0
	s_add_i32 s17, s17, s16
	s_mul_i32 s16, s26, s24
	s_lshl_b64 s[16:17], s[16:17], 3
	s_lshl_b64 s[18:19], s[22:23], 3
	s_add_u32 s16, s16, s18
	s_addc_u32 s17, s17, s19
	v_and_b32_e32 v2, 63, v0
	s_add_u32 s16, s20, s16
	v_mbcnt_lo_u32_b32 v8, -1, 0
	v_cmp_eq_u32_e64 s[4:5], 0, v2
	v_lshlrev_b32_e32 v2, 3, v0
	v_mov_b32_e32 v3, 0
	s_addc_u32 s17, s21, s17
	v_mbcnt_hi_u32_b32 v16, -1, v8
	v_mov_b32_e32 v8, 0x80
	v_cmp_gt_i32_e64 s[2:3], s8, v0
	v_lshrrev_b32_e32 v15, 3, v0
	v_cmp_eq_u32_e64 s[6:7], 0, v0
	v_lshl_add_u64 v[4:5], s[16:17], 0, v[2:3]
	s_lshl_b64 s[16:17], s[26:27], 9
	s_mov_b64 s[18:19], 0x800
	v_mov_b32_e32 v2, 0x4008
	s_mov_b64 s[20:21], 0x100
	v_mov_b64_e32 v[6:7], s[10:11]
	v_and_b32_e32 v17, 63, v16
	v_lshl_or_b32 v18, v16, 2, v8
	s_branch .LBB32_8
.LBB32_7:                               ;   in Loop: Header=BB32_8 Depth=1
	s_or_b64 exec, exec, s[10:11]
	s_add_u32 s24, s24, 64
	s_addc_u32 s25, s25, 0
	v_cmp_ge_i64_e32 vcc, s[24:25], v[6:7]
	v_lshl_add_u64 v[4:5], v[4:5], 0, s[16:17]
	s_cbranch_vccnz .LBB32_25
.LBB32_8:                               ; =>This Loop Header: Depth=1
                                        ;     Child Loop BB32_10 Depth 2
                                        ;     Child Loop BB32_24 Depth 2
	v_mov_b64_e32 v[8:9], 0
	s_and_saveexec_b64 s[10:11], s[2:3]
	s_cbranch_execz .LBB32_12
; %bb.9:                                ;   in Loop: Header=BB32_8 Depth=1
	v_mov_b64_e32 v[8:9], 0
	s_mov_b64 s[22:23], 0
	v_mov_b64_e32 v[10:11], v[4:5]
	v_mov_b32_e32 v12, v14
	v_mov_b32_e32 v13, v0
.LBB32_10:                              ;   Parent Loop BB32_8 Depth=1
                                        ; =>  This Inner Loop Header: Depth=2
	flat_load_dwordx2 v[20:21], v[10:11]
	ds_read_b64 v[22:23], v12
	v_add_u32_e32 v13, 0x100, v13
	v_cmp_le_i32_e32 vcc, s8, v13
	v_add_u32_e32 v12, 0x800, v12
	v_lshl_add_u64 v[10:11], v[10:11], 0, s[18:19]
	s_or_b64 s[22:23], vcc, s[22:23]
	s_waitcnt vmcnt(0) lgkmcnt(0)
	v_fmac_f64_e32 v[8:9], v[22:23], v[20:21]
	s_andn2_b64 exec, exec, s[22:23]
	s_cbranch_execnz .LBB32_10
; %bb.11:                               ;   in Loop: Header=BB32_8 Depth=1
	s_or_b64 exec, exec, s[22:23]
.LBB32_12:                              ;   in Loop: Header=BB32_8 Depth=1
	s_or_b64 exec, exec, s[10:11]
	s_and_b64 vcc, exec, s[14:15]
	s_cbranch_vccz .LBB32_19
; %bb.13:                               ;   in Loop: Header=BB32_8 Depth=1
	v_cmp_ne_u32_e32 vcc, 63, v17
	s_nop 1
	v_addc_co_u32_e32 v10, vcc, 0, v16, vcc
	v_lshlrev_b32_e32 v11, 2, v10
	ds_bpermute_b32 v10, v11, v8
	ds_bpermute_b32 v11, v11, v9
	v_cmp_gt_u32_e32 vcc, 62, v17
	s_waitcnt lgkmcnt(0)
	v_add_f64 v[10:11], v[8:9], v[10:11]
	v_cndmask_b32_e64 v12, 0, 2, vcc
	v_add_lshl_u32 v13, v12, v16, 2
	ds_bpermute_b32 v12, v13, v10
	ds_bpermute_b32 v13, v13, v11
	v_cmp_gt_u32_e32 vcc, 60, v17
	s_waitcnt lgkmcnt(0)
	v_add_f64 v[10:11], v[10:11], v[12:13]
	v_cndmask_b32_e64 v12, 0, 4, vcc
	v_add_lshl_u32 v13, v12, v16, 2
	;; [unrolled: 7-line block ×4, first 2 shown]
	ds_bpermute_b32 v12, v13, v10
	ds_bpermute_b32 v13, v13, v11
	s_waitcnt lgkmcnt(0)
	v_add_f64 v[10:11], v[10:11], v[12:13]
	ds_bpermute_b32 v12, v18, v10
	ds_bpermute_b32 v13, v18, v11
	s_waitcnt lgkmcnt(0)
	v_add_f64 v[10:11], v[10:11], v[12:13]
	s_and_saveexec_b64 s[10:11], s[4:5]
; %bb.14:                               ;   in Loop: Header=BB32_8 Depth=1
	ds_write_b64 v15, v[10:11] offset:16384
; %bb.15:                               ;   in Loop: Header=BB32_8 Depth=1
	s_or_b64 exec, exec, s[10:11]
	s_mov_b64 s[22:23], 0
	s_mov_b64 s[10:11], 0
	s_waitcnt lgkmcnt(0)
	s_barrier
                                        ; implicit-def: $vgpr12_vgpr13
	s_and_saveexec_b64 s[26:27], s[6:7]
	s_xor_b64 s[26:27], exec, s[26:27]
	s_cbranch_execz .LBB32_17
; %bb.16:                               ;   in Loop: Header=BB32_8 Depth=1
	ds_read2_b64 v[20:23], v2 offset1:1
	ds_read_b64 v[12:13], v3 offset:16408
	s_mov_b64 s[10:11], exec
	s_waitcnt lgkmcnt(0)
	v_add_f64 v[10:11], v[10:11], v[20:21]
	v_add_f64 v[10:11], v[10:11], v[22:23]
	s_waitcnt lgkmcnt(0)
	v_add_f64 v[12:13], v[10:11], v[12:13]
.LBB32_17:                              ;   in Loop: Header=BB32_8 Depth=1
	s_or_b64 exec, exec, s[26:27]
	s_and_b64 vcc, exec, s[22:23]
	s_cbranch_vccnz .LBB32_20
.LBB32_18:                              ;   in Loop: Header=BB32_8 Depth=1
	v_mov_b64_e32 v[8:9], v[12:13]
	s_and_saveexec_b64 s[22:23], s[10:11]
	s_cbranch_execnz .LBB32_21
	s_branch .LBB32_22
.LBB32_19:                              ;   in Loop: Header=BB32_8 Depth=1
	s_mov_b64 s[10:11], 0
                                        ; implicit-def: $vgpr12_vgpr13
	s_cbranch_execz .LBB32_18
.LBB32_20:                              ;   in Loop: Header=BB32_8 Depth=1
	s_andn2_b64 s[10:11], s[10:11], exec
	s_and_b64 s[22:23], s[6:7], exec
	s_or_b64 s[10:11], s[10:11], s[22:23]
	s_and_saveexec_b64 s[22:23], s[10:11]
.LBB32_21:                              ;   in Loop: Header=BB32_8 Depth=1
	ds_write_b64 v3, v[8:9] offset:16384
.LBB32_22:                              ;   in Loop: Header=BB32_8 Depth=1
	s_or_b64 exec, exec, s[22:23]
	s_waitcnt lgkmcnt(0)
	s_barrier
	s_and_saveexec_b64 s[10:11], s[0:1]
	s_cbranch_execz .LBB32_7
; %bb.23:                               ;   in Loop: Header=BB32_8 Depth=1
	global_load_dwordx2 v[10:11], v3, s[12:13]
	ds_read_b64 v[12:13], v3 offset:16384
	s_mov_b64 s[22:23], 0
	v_mov_b64_e32 v[8:9], v[4:5]
	v_mov_b32_e32 v19, v14
	s_waitcnt vmcnt(0) lgkmcnt(0)
	v_mul_f64 v[10:11], v[12:13], -v[10:11]
	v_mov_b64_e32 v[12:13], v[0:1]
.LBB32_24:                              ;   Parent Loop BB32_8 Depth=1
                                        ; =>  This Inner Loop Header: Depth=2
	flat_load_dwordx2 v[20:21], v[8:9]
	ds_read_b64 v[22:23], v19
	v_lshl_add_u64 v[12:13], v[12:13], 0, s[20:21]
	v_cmp_le_i64_e32 vcc, s[8:9], v[12:13]
	v_add_u32_e32 v19, 0x800, v19
	s_or_b64 s[22:23], vcc, s[22:23]
	s_waitcnt vmcnt(0) lgkmcnt(0)
	v_fmac_f64_e32 v[20:21], v[10:11], v[22:23]
	flat_store_dwordx2 v[8:9], v[20:21]
	v_lshl_add_u64 v[8:9], v[8:9], 0, s[18:19]
	s_andn2_b64 exec, exec, s[22:23]
	s_cbranch_execnz .LBB32_24
	s_branch .LBB32_7
.LBB32_25:
	s_endpgm
	.section	.rodata,"a",@progbits
	.p2align	6, 0x0
	.amdhsa_kernel _ZN9rocsolver6v33100L22larf_left_kernel_smallILi256EdlPKPdEEvT1_S5_T2_lS5_lPKT0_lS6_lS5_l
		.amdhsa_group_segment_fixed_size 18432
		.amdhsa_private_segment_fixed_size 0
		.amdhsa_kernarg_size 96
		.amdhsa_user_sgpr_count 2
		.amdhsa_user_sgpr_dispatch_ptr 0
		.amdhsa_user_sgpr_queue_ptr 0
		.amdhsa_user_sgpr_kernarg_segment_ptr 1
		.amdhsa_user_sgpr_dispatch_id 0
		.amdhsa_user_sgpr_kernarg_preload_length 0
		.amdhsa_user_sgpr_kernarg_preload_offset 0
		.amdhsa_user_sgpr_private_segment_size 0
		.amdhsa_uses_dynamic_stack 0
		.amdhsa_enable_private_segment 0
		.amdhsa_system_sgpr_workgroup_id_x 1
		.amdhsa_system_sgpr_workgroup_id_y 1
		.amdhsa_system_sgpr_workgroup_id_z 0
		.amdhsa_system_sgpr_workgroup_info 0
		.amdhsa_system_vgpr_workitem_id 0
		.amdhsa_next_free_vgpr 24
		.amdhsa_next_free_sgpr 32
		.amdhsa_accum_offset 24
		.amdhsa_reserve_vcc 1
		.amdhsa_float_round_mode_32 0
		.amdhsa_float_round_mode_16_64 0
		.amdhsa_float_denorm_mode_32 3
		.amdhsa_float_denorm_mode_16_64 3
		.amdhsa_dx10_clamp 1
		.amdhsa_ieee_mode 1
		.amdhsa_fp16_overflow 0
		.amdhsa_tg_split 0
		.amdhsa_exception_fp_ieee_invalid_op 0
		.amdhsa_exception_fp_denorm_src 0
		.amdhsa_exception_fp_ieee_div_zero 0
		.amdhsa_exception_fp_ieee_overflow 0
		.amdhsa_exception_fp_ieee_underflow 0
		.amdhsa_exception_fp_ieee_inexact 0
		.amdhsa_exception_int_div_zero 0
	.end_amdhsa_kernel
	.section	.text._ZN9rocsolver6v33100L22larf_left_kernel_smallILi256EdlPKPdEEvT1_S5_T2_lS5_lPKT0_lS6_lS5_l,"axG",@progbits,_ZN9rocsolver6v33100L22larf_left_kernel_smallILi256EdlPKPdEEvT1_S5_T2_lS5_lPKT0_lS6_lS5_l,comdat
.Lfunc_end32:
	.size	_ZN9rocsolver6v33100L22larf_left_kernel_smallILi256EdlPKPdEEvT1_S5_T2_lS5_lPKT0_lS6_lS5_l, .Lfunc_end32-_ZN9rocsolver6v33100L22larf_left_kernel_smallILi256EdlPKPdEEvT1_S5_T2_lS5_lPKT0_lS6_lS5_l
                                        ; -- End function
	.set _ZN9rocsolver6v33100L22larf_left_kernel_smallILi256EdlPKPdEEvT1_S5_T2_lS5_lPKT0_lS6_lS5_l.num_vgpr, 24
	.set _ZN9rocsolver6v33100L22larf_left_kernel_smallILi256EdlPKPdEEvT1_S5_T2_lS5_lPKT0_lS6_lS5_l.num_agpr, 0
	.set _ZN9rocsolver6v33100L22larf_left_kernel_smallILi256EdlPKPdEEvT1_S5_T2_lS5_lPKT0_lS6_lS5_l.numbered_sgpr, 32
	.set _ZN9rocsolver6v33100L22larf_left_kernel_smallILi256EdlPKPdEEvT1_S5_T2_lS5_lPKT0_lS6_lS5_l.num_named_barrier, 0
	.set _ZN9rocsolver6v33100L22larf_left_kernel_smallILi256EdlPKPdEEvT1_S5_T2_lS5_lPKT0_lS6_lS5_l.private_seg_size, 0
	.set _ZN9rocsolver6v33100L22larf_left_kernel_smallILi256EdlPKPdEEvT1_S5_T2_lS5_lPKT0_lS6_lS5_l.uses_vcc, 1
	.set _ZN9rocsolver6v33100L22larf_left_kernel_smallILi256EdlPKPdEEvT1_S5_T2_lS5_lPKT0_lS6_lS5_l.uses_flat_scratch, 0
	.set _ZN9rocsolver6v33100L22larf_left_kernel_smallILi256EdlPKPdEEvT1_S5_T2_lS5_lPKT0_lS6_lS5_l.has_dyn_sized_stack, 0
	.set _ZN9rocsolver6v33100L22larf_left_kernel_smallILi256EdlPKPdEEvT1_S5_T2_lS5_lPKT0_lS6_lS5_l.has_recursion, 0
	.set _ZN9rocsolver6v33100L22larf_left_kernel_smallILi256EdlPKPdEEvT1_S5_T2_lS5_lPKT0_lS6_lS5_l.has_indirect_call, 0
	.section	.AMDGPU.csdata,"",@progbits
; Kernel info:
; codeLenInByte = 1228
; TotalNumSgprs: 38
; NumVgprs: 24
; NumAgprs: 0
; TotalNumVgprs: 24
; ScratchSize: 0
; MemoryBound: 0
; FloatMode: 240
; IeeeMode: 1
; LDSByteSize: 18432 bytes/workgroup (compile time only)
; SGPRBlocks: 4
; VGPRBlocks: 2
; NumSGPRsForWavesPerEU: 38
; NumVGPRsForWavesPerEU: 24
; AccumOffset: 24
; Occupancy: 8
; WaveLimiterHint : 0
; COMPUTE_PGM_RSRC2:SCRATCH_EN: 0
; COMPUTE_PGM_RSRC2:USER_SGPR: 2
; COMPUTE_PGM_RSRC2:TRAP_HANDLER: 0
; COMPUTE_PGM_RSRC2:TGID_X_EN: 1
; COMPUTE_PGM_RSRC2:TGID_Y_EN: 1
; COMPUTE_PGM_RSRC2:TGID_Z_EN: 0
; COMPUTE_PGM_RSRC2:TIDIG_COMP_CNT: 0
; COMPUTE_PGM_RSRC3_GFX90A:ACCUM_OFFSET: 5
; COMPUTE_PGM_RSRC3_GFX90A:TG_SPLIT: 0
	.section	.text._ZN9rocsolver6v33100L22larf_left_kernel_smallILi512EdlPKPdEEvT1_S5_T2_lS5_lPKT0_lS6_lS5_l,"axG",@progbits,_ZN9rocsolver6v33100L22larf_left_kernel_smallILi512EdlPKPdEEvT1_S5_T2_lS5_lPKT0_lS6_lS5_l,comdat
	.globl	_ZN9rocsolver6v33100L22larf_left_kernel_smallILi512EdlPKPdEEvT1_S5_T2_lS5_lPKT0_lS6_lS5_l ; -- Begin function _ZN9rocsolver6v33100L22larf_left_kernel_smallILi512EdlPKPdEEvT1_S5_T2_lS5_lPKT0_lS6_lS5_l
	.p2align	8
	.type	_ZN9rocsolver6v33100L22larf_left_kernel_smallILi512EdlPKPdEEvT1_S5_T2_lS5_lPKT0_lS6_lS5_l,@function
_ZN9rocsolver6v33100L22larf_left_kernel_smallILi512EdlPKPdEEvT1_S5_T2_lS5_lPKT0_lS6_lS5_l: ; @_ZN9rocsolver6v33100L22larf_left_kernel_smallILi512EdlPKPdEEvT1_S5_T2_lS5_lPKT0_lS6_lS5_l
; %bb.0:
	s_mov_b32 s24, s3
	s_load_dwordx8 s[8:15], s[0:1], 0x0
	s_load_dwordx2 s[4:5], s[0:1], 0x20
	s_load_dwordx8 s[16:23], s[0:1], 0x30
	s_load_dwordx2 s[26:27], s[0:1], 0x50
	s_mov_b32 s3, 0
	s_lshl_b64 s[0:1], s[2:3], 3
	s_waitcnt lgkmcnt(0)
	s_add_u32 s12, s12, s0
	s_addc_u32 s13, s13, s1
	s_add_u32 s0, s20, s0
	v_cmp_gt_i64_e64 s[6:7], s[4:5], 0
	s_addc_u32 s1, s21, s1
	s_mov_b64 s[28:29], 0
	s_and_b64 vcc, exec, s[6:7]
	s_cbranch_vccnz .LBB33_2
; %bb.1:
	s_sub_u32 s3, 1, s8
	s_subb_u32 s6, 0, s9
	s_mul_i32 s6, s4, s6
	s_mul_hi_u32 s7, s4, s3
	s_add_i32 s6, s7, s6
	s_mul_i32 s7, s5, s3
	s_add_i32 s29, s6, s7
	s_mul_i32 s28, s4, s3
.LBB33_2:
	s_load_dwordx2 s[20:21], s[0:1], 0x0
	v_mov_b32_e32 v1, 0
	v_cmp_gt_i64_e64 s[0:1], s[8:9], v[0:1]
	v_lshlrev_b32_e32 v14, 3, v0
	s_and_saveexec_b64 s[6:7], s[0:1]
	s_cbranch_execz .LBB33_5
; %bb.3:
	s_load_dwordx2 s[12:13], s[12:13], 0x0
	s_lshl_b64 s[28:29], s[28:29], 3
	s_lshl_b64 s[14:15], s[14:15], 3
	v_mad_u64_u32 v[2:3], s[30:31], s4, v0, 0
	s_waitcnt lgkmcnt(0)
	s_add_u32 s3, s12, s14
	v_mov_b32_e32 v4, v3
	s_addc_u32 s13, s13, s15
	v_mad_u64_u32 v[4:5], s[30:31], s5, v0, v[4:5]
	s_add_u32 s12, s3, s28
	v_mov_b32_e32 v3, v4
	s_addc_u32 s13, s13, s29
	v_lshl_add_u64 v[2:3], v[2:3], 3, s[12:13]
	s_lshl_b64 s[4:5], s[4:5], 12
	v_lshlrev_b32_e32 v6, 3, v0
	s_mov_b64 s[12:13], 0
	s_mov_b64 s[14:15], 0x200
	v_mov_b64_e32 v[4:5], v[0:1]
.LBB33_4:                               ; =>This Inner Loop Header: Depth=1
	flat_load_dwordx2 v[8:9], v[2:3]
	v_lshl_add_u64 v[4:5], v[4:5], 0, s[14:15]
	v_cmp_le_i64_e32 vcc, s[8:9], v[4:5]
	v_lshl_add_u64 v[2:3], v[2:3], 0, s[4:5]
	s_or_b64 s[12:13], vcc, s[12:13]
	s_waitcnt vmcnt(0) lgkmcnt(0)
	ds_write_b64 v6, v[8:9]
	v_add_u32_e32 v6, 0x1000, v6
	s_andn2_b64 exec, exec, s[12:13]
	s_cbranch_execnz .LBB33_4
.LBB33_5:
	s_or_b64 exec, exec, s[6:7]
	s_mov_b32 s25, 0
	v_mov_b64_e32 v[2:3], s[24:25]
	v_cmp_le_i64_e32 vcc, s[10:11], v[2:3]
	s_waitcnt lgkmcnt(0)
	s_barrier
	s_cbranch_vccnz .LBB33_25
; %bb.6:
	s_mul_i32 s3, s19, s2
	s_mul_hi_u32 s4, s18, s2
	s_add_i32 s3, s4, s3
	s_mul_i32 s2, s18, s2
	s_lshl_b64 s[2:3], s[2:3], 3
	s_add_u32 s12, s16, s2
	s_addc_u32 s13, s17, s3
	s_cmp_gt_i32 s8, 1
	s_mul_i32 s16, s27, s24
	s_mul_hi_u32 s17, s26, s24
	s_cselect_b64 s[14:15], -1, 0
	s_add_i32 s17, s17, s16
	s_mul_i32 s16, s26, s24
	s_lshl_b64 s[16:17], s[16:17], 3
	s_lshl_b64 s[18:19], s[22:23], 3
	s_add_u32 s16, s16, s18
	s_addc_u32 s17, s17, s19
	v_and_b32_e32 v2, 63, v0
	s_add_u32 s16, s20, s16
	v_mbcnt_lo_u32_b32 v8, -1, 0
	v_cmp_eq_u32_e64 s[4:5], 0, v2
	v_lshlrev_b32_e32 v2, 3, v0
	v_mov_b32_e32 v3, 0
	s_addc_u32 s17, s21, s17
	v_mbcnt_hi_u32_b32 v18, -1, v8
	v_mov_b32_e32 v8, 0x80
	v_cmp_gt_i32_e64 s[2:3], s8, v0
	v_lshrrev_b32_e32 v15, 3, v0
	v_cmp_eq_u32_e64 s[6:7], 0, v0
	v_lshl_add_u64 v[4:5], s[16:17], 0, v[2:3]
	s_lshl_b64 s[16:17], s[26:27], 9
	s_mov_b64 s[18:19], 0x1000
	v_mov_b32_e32 v2, 0x4008
	v_mov_b32_e32 v16, 0x4018
	;; [unrolled: 1-line block ×3, first 2 shown]
	s_mov_b64 s[20:21], 0x200
	v_mov_b64_e32 v[6:7], s[10:11]
	v_and_b32_e32 v19, 63, v18
	v_lshl_or_b32 v20, v18, 2, v8
	s_branch .LBB33_8
.LBB33_7:                               ;   in Loop: Header=BB33_8 Depth=1
	s_or_b64 exec, exec, s[10:11]
	s_add_u32 s24, s24, 64
	s_addc_u32 s25, s25, 0
	v_cmp_ge_i64_e32 vcc, s[24:25], v[6:7]
	v_lshl_add_u64 v[4:5], v[4:5], 0, s[16:17]
	s_cbranch_vccnz .LBB33_25
.LBB33_8:                               ; =>This Loop Header: Depth=1
                                        ;     Child Loop BB33_10 Depth 2
                                        ;     Child Loop BB33_24 Depth 2
	v_mov_b64_e32 v[8:9], 0
	s_and_saveexec_b64 s[10:11], s[2:3]
	s_cbranch_execz .LBB33_12
; %bb.9:                                ;   in Loop: Header=BB33_8 Depth=1
	v_mov_b64_e32 v[8:9], 0
	s_mov_b64 s[22:23], 0
	v_mov_b64_e32 v[10:11], v[4:5]
	v_mov_b32_e32 v12, v14
	v_mov_b32_e32 v13, v0
.LBB33_10:                              ;   Parent Loop BB33_8 Depth=1
                                        ; =>  This Inner Loop Header: Depth=2
	flat_load_dwordx2 v[22:23], v[10:11]
	ds_read_b64 v[24:25], v12
	v_add_u32_e32 v13, 0x200, v13
	v_cmp_le_i32_e32 vcc, s8, v13
	v_add_u32_e32 v12, 0x1000, v12
	v_lshl_add_u64 v[10:11], v[10:11], 0, s[18:19]
	s_or_b64 s[22:23], vcc, s[22:23]
	s_waitcnt vmcnt(0) lgkmcnt(0)
	v_fmac_f64_e32 v[8:9], v[24:25], v[22:23]
	s_andn2_b64 exec, exec, s[22:23]
	s_cbranch_execnz .LBB33_10
; %bb.11:                               ;   in Loop: Header=BB33_8 Depth=1
	s_or_b64 exec, exec, s[22:23]
.LBB33_12:                              ;   in Loop: Header=BB33_8 Depth=1
	s_or_b64 exec, exec, s[10:11]
	s_and_b64 vcc, exec, s[14:15]
	s_cbranch_vccz .LBB33_19
; %bb.13:                               ;   in Loop: Header=BB33_8 Depth=1
	v_cmp_ne_u32_e32 vcc, 63, v19
	s_nop 1
	v_addc_co_u32_e32 v10, vcc, 0, v18, vcc
	v_lshlrev_b32_e32 v11, 2, v10
	ds_bpermute_b32 v10, v11, v8
	ds_bpermute_b32 v11, v11, v9
	v_cmp_gt_u32_e32 vcc, 62, v19
	s_waitcnt lgkmcnt(0)
	v_add_f64 v[10:11], v[8:9], v[10:11]
	v_cndmask_b32_e64 v12, 0, 2, vcc
	v_add_lshl_u32 v13, v12, v18, 2
	ds_bpermute_b32 v12, v13, v10
	ds_bpermute_b32 v13, v13, v11
	v_cmp_gt_u32_e32 vcc, 60, v19
	s_waitcnt lgkmcnt(0)
	v_add_f64 v[10:11], v[10:11], v[12:13]
	v_cndmask_b32_e64 v12, 0, 4, vcc
	v_add_lshl_u32 v13, v12, v18, 2
	;; [unrolled: 7-line block ×4, first 2 shown]
	ds_bpermute_b32 v12, v13, v10
	ds_bpermute_b32 v13, v13, v11
	s_waitcnt lgkmcnt(0)
	v_add_f64 v[10:11], v[10:11], v[12:13]
	ds_bpermute_b32 v12, v20, v10
	ds_bpermute_b32 v13, v20, v11
	s_waitcnt lgkmcnt(0)
	v_add_f64 v[10:11], v[10:11], v[12:13]
	s_and_saveexec_b64 s[10:11], s[4:5]
; %bb.14:                               ;   in Loop: Header=BB33_8 Depth=1
	ds_write_b64 v15, v[10:11] offset:16384
; %bb.15:                               ;   in Loop: Header=BB33_8 Depth=1
	s_or_b64 exec, exec, s[10:11]
	s_mov_b64 s[22:23], 0
	s_mov_b64 s[10:11], 0
	s_waitcnt lgkmcnt(0)
	s_barrier
                                        ; implicit-def: $vgpr12_vgpr13
	s_and_saveexec_b64 s[26:27], s[6:7]
	s_xor_b64 s[26:27], exec, s[26:27]
	s_cbranch_execz .LBB33_17
; %bb.16:                               ;   in Loop: Header=BB33_8 Depth=1
	ds_read2_b64 v[22:25], v2 offset1:1
	ds_read2_b64 v[26:29], v16 offset1:1
	ds_read2_b64 v[30:33], v17 offset1:1
	ds_read_b64 v[12:13], v3 offset:16440
	s_mov_b64 s[10:11], exec
	s_waitcnt lgkmcnt(0)
	v_add_f64 v[10:11], v[10:11], v[22:23]
	v_add_f64 v[10:11], v[10:11], v[24:25]
	s_waitcnt lgkmcnt(2)
	v_add_f64 v[10:11], v[10:11], v[26:27]
	v_add_f64 v[10:11], v[10:11], v[28:29]
	;; [unrolled: 3-line block ×3, first 2 shown]
	s_waitcnt lgkmcnt(0)
	v_add_f64 v[12:13], v[10:11], v[12:13]
.LBB33_17:                              ;   in Loop: Header=BB33_8 Depth=1
	s_or_b64 exec, exec, s[26:27]
	s_and_b64 vcc, exec, s[22:23]
	s_cbranch_vccnz .LBB33_20
.LBB33_18:                              ;   in Loop: Header=BB33_8 Depth=1
	v_mov_b64_e32 v[8:9], v[12:13]
	s_and_saveexec_b64 s[22:23], s[10:11]
	s_cbranch_execnz .LBB33_21
	s_branch .LBB33_22
.LBB33_19:                              ;   in Loop: Header=BB33_8 Depth=1
	s_mov_b64 s[10:11], 0
                                        ; implicit-def: $vgpr12_vgpr13
	s_cbranch_execz .LBB33_18
.LBB33_20:                              ;   in Loop: Header=BB33_8 Depth=1
	s_andn2_b64 s[10:11], s[10:11], exec
	s_and_b64 s[22:23], s[6:7], exec
	s_or_b64 s[10:11], s[10:11], s[22:23]
	s_and_saveexec_b64 s[22:23], s[10:11]
.LBB33_21:                              ;   in Loop: Header=BB33_8 Depth=1
	ds_write_b64 v3, v[8:9] offset:16384
.LBB33_22:                              ;   in Loop: Header=BB33_8 Depth=1
	s_or_b64 exec, exec, s[22:23]
	s_waitcnt lgkmcnt(0)
	s_barrier
	s_and_saveexec_b64 s[10:11], s[0:1]
	s_cbranch_execz .LBB33_7
; %bb.23:                               ;   in Loop: Header=BB33_8 Depth=1
	global_load_dwordx2 v[10:11], v3, s[12:13]
	ds_read_b64 v[12:13], v3 offset:16384
	s_mov_b64 s[22:23], 0
	v_mov_b64_e32 v[8:9], v[4:5]
	v_mov_b32_e32 v21, v14
	s_waitcnt vmcnt(0) lgkmcnt(0)
	v_mul_f64 v[10:11], v[12:13], -v[10:11]
	v_mov_b64_e32 v[12:13], v[0:1]
.LBB33_24:                              ;   Parent Loop BB33_8 Depth=1
                                        ; =>  This Inner Loop Header: Depth=2
	flat_load_dwordx2 v[22:23], v[8:9]
	ds_read_b64 v[24:25], v21
	v_lshl_add_u64 v[12:13], v[12:13], 0, s[20:21]
	v_cmp_le_i64_e32 vcc, s[8:9], v[12:13]
	v_add_u32_e32 v21, 0x1000, v21
	s_or_b64 s[22:23], vcc, s[22:23]
	s_waitcnt vmcnt(0) lgkmcnt(0)
	v_fmac_f64_e32 v[22:23], v[10:11], v[24:25]
	flat_store_dwordx2 v[8:9], v[22:23]
	v_lshl_add_u64 v[8:9], v[8:9], 0, s[18:19]
	s_andn2_b64 exec, exec, s[22:23]
	s_cbranch_execnz .LBB33_24
	s_branch .LBB33_7
.LBB33_25:
	s_endpgm
	.section	.rodata,"a",@progbits
	.p2align	6, 0x0
	.amdhsa_kernel _ZN9rocsolver6v33100L22larf_left_kernel_smallILi512EdlPKPdEEvT1_S5_T2_lS5_lPKT0_lS6_lS5_l
		.amdhsa_group_segment_fixed_size 20480
		.amdhsa_private_segment_fixed_size 0
		.amdhsa_kernarg_size 96
		.amdhsa_user_sgpr_count 2
		.amdhsa_user_sgpr_dispatch_ptr 0
		.amdhsa_user_sgpr_queue_ptr 0
		.amdhsa_user_sgpr_kernarg_segment_ptr 1
		.amdhsa_user_sgpr_dispatch_id 0
		.amdhsa_user_sgpr_kernarg_preload_length 0
		.amdhsa_user_sgpr_kernarg_preload_offset 0
		.amdhsa_user_sgpr_private_segment_size 0
		.amdhsa_uses_dynamic_stack 0
		.amdhsa_enable_private_segment 0
		.amdhsa_system_sgpr_workgroup_id_x 1
		.amdhsa_system_sgpr_workgroup_id_y 1
		.amdhsa_system_sgpr_workgroup_id_z 0
		.amdhsa_system_sgpr_workgroup_info 0
		.amdhsa_system_vgpr_workitem_id 0
		.amdhsa_next_free_vgpr 34
		.amdhsa_next_free_sgpr 32
		.amdhsa_accum_offset 36
		.amdhsa_reserve_vcc 1
		.amdhsa_float_round_mode_32 0
		.amdhsa_float_round_mode_16_64 0
		.amdhsa_float_denorm_mode_32 3
		.amdhsa_float_denorm_mode_16_64 3
		.amdhsa_dx10_clamp 1
		.amdhsa_ieee_mode 1
		.amdhsa_fp16_overflow 0
		.amdhsa_tg_split 0
		.amdhsa_exception_fp_ieee_invalid_op 0
		.amdhsa_exception_fp_denorm_src 0
		.amdhsa_exception_fp_ieee_div_zero 0
		.amdhsa_exception_fp_ieee_overflow 0
		.amdhsa_exception_fp_ieee_underflow 0
		.amdhsa_exception_fp_ieee_inexact 0
		.amdhsa_exception_int_div_zero 0
	.end_amdhsa_kernel
	.section	.text._ZN9rocsolver6v33100L22larf_left_kernel_smallILi512EdlPKPdEEvT1_S5_T2_lS5_lPKT0_lS6_lS5_l,"axG",@progbits,_ZN9rocsolver6v33100L22larf_left_kernel_smallILi512EdlPKPdEEvT1_S5_T2_lS5_lPKT0_lS6_lS5_l,comdat
.Lfunc_end33:
	.size	_ZN9rocsolver6v33100L22larf_left_kernel_smallILi512EdlPKPdEEvT1_S5_T2_lS5_lPKT0_lS6_lS5_l, .Lfunc_end33-_ZN9rocsolver6v33100L22larf_left_kernel_smallILi512EdlPKPdEEvT1_S5_T2_lS5_lPKT0_lS6_lS5_l
                                        ; -- End function
	.set _ZN9rocsolver6v33100L22larf_left_kernel_smallILi512EdlPKPdEEvT1_S5_T2_lS5_lPKT0_lS6_lS5_l.num_vgpr, 34
	.set _ZN9rocsolver6v33100L22larf_left_kernel_smallILi512EdlPKPdEEvT1_S5_T2_lS5_lPKT0_lS6_lS5_l.num_agpr, 0
	.set _ZN9rocsolver6v33100L22larf_left_kernel_smallILi512EdlPKPdEEvT1_S5_T2_lS5_lPKT0_lS6_lS5_l.numbered_sgpr, 32
	.set _ZN9rocsolver6v33100L22larf_left_kernel_smallILi512EdlPKPdEEvT1_S5_T2_lS5_lPKT0_lS6_lS5_l.num_named_barrier, 0
	.set _ZN9rocsolver6v33100L22larf_left_kernel_smallILi512EdlPKPdEEvT1_S5_T2_lS5_lPKT0_lS6_lS5_l.private_seg_size, 0
	.set _ZN9rocsolver6v33100L22larf_left_kernel_smallILi512EdlPKPdEEvT1_S5_T2_lS5_lPKT0_lS6_lS5_l.uses_vcc, 1
	.set _ZN9rocsolver6v33100L22larf_left_kernel_smallILi512EdlPKPdEEvT1_S5_T2_lS5_lPKT0_lS6_lS5_l.uses_flat_scratch, 0
	.set _ZN9rocsolver6v33100L22larf_left_kernel_smallILi512EdlPKPdEEvT1_S5_T2_lS5_lPKT0_lS6_lS5_l.has_dyn_sized_stack, 0
	.set _ZN9rocsolver6v33100L22larf_left_kernel_smallILi512EdlPKPdEEvT1_S5_T2_lS5_lPKT0_lS6_lS5_l.has_recursion, 0
	.set _ZN9rocsolver6v33100L22larf_left_kernel_smallILi512EdlPKPdEEvT1_S5_T2_lS5_lPKT0_lS6_lS5_l.has_indirect_call, 0
	.section	.AMDGPU.csdata,"",@progbits
; Kernel info:
; codeLenInByte = 1300
; TotalNumSgprs: 38
; NumVgprs: 34
; NumAgprs: 0
; TotalNumVgprs: 34
; ScratchSize: 0
; MemoryBound: 0
; FloatMode: 240
; IeeeMode: 1
; LDSByteSize: 20480 bytes/workgroup (compile time only)
; SGPRBlocks: 4
; VGPRBlocks: 4
; NumSGPRsForWavesPerEU: 38
; NumVGPRsForWavesPerEU: 34
; AccumOffset: 36
; Occupancy: 8
; WaveLimiterHint : 0
; COMPUTE_PGM_RSRC2:SCRATCH_EN: 0
; COMPUTE_PGM_RSRC2:USER_SGPR: 2
; COMPUTE_PGM_RSRC2:TRAP_HANDLER: 0
; COMPUTE_PGM_RSRC2:TGID_X_EN: 1
; COMPUTE_PGM_RSRC2:TGID_Y_EN: 1
; COMPUTE_PGM_RSRC2:TGID_Z_EN: 0
; COMPUTE_PGM_RSRC2:TIDIG_COMP_CNT: 0
; COMPUTE_PGM_RSRC3_GFX90A:ACCUM_OFFSET: 8
; COMPUTE_PGM_RSRC3_GFX90A:TG_SPLIT: 0
	.section	.text._ZN9rocsolver6v33100L22larf_left_kernel_smallILi1024EdlPKPdEEvT1_S5_T2_lS5_lPKT0_lS6_lS5_l,"axG",@progbits,_ZN9rocsolver6v33100L22larf_left_kernel_smallILi1024EdlPKPdEEvT1_S5_T2_lS5_lPKT0_lS6_lS5_l,comdat
	.globl	_ZN9rocsolver6v33100L22larf_left_kernel_smallILi1024EdlPKPdEEvT1_S5_T2_lS5_lPKT0_lS6_lS5_l ; -- Begin function _ZN9rocsolver6v33100L22larf_left_kernel_smallILi1024EdlPKPdEEvT1_S5_T2_lS5_lPKT0_lS6_lS5_l
	.p2align	8
	.type	_ZN9rocsolver6v33100L22larf_left_kernel_smallILi1024EdlPKPdEEvT1_S5_T2_lS5_lPKT0_lS6_lS5_l,@function
_ZN9rocsolver6v33100L22larf_left_kernel_smallILi1024EdlPKPdEEvT1_S5_T2_lS5_lPKT0_lS6_lS5_l: ; @_ZN9rocsolver6v33100L22larf_left_kernel_smallILi1024EdlPKPdEEvT1_S5_T2_lS5_lPKT0_lS6_lS5_l
; %bb.0:
	s_mov_b32 s24, s3
	s_load_dwordx8 s[8:15], s[0:1], 0x0
	s_load_dwordx2 s[4:5], s[0:1], 0x20
	s_load_dwordx8 s[16:23], s[0:1], 0x30
	s_load_dwordx2 s[26:27], s[0:1], 0x50
	s_mov_b32 s3, 0
	s_lshl_b64 s[0:1], s[2:3], 3
	s_waitcnt lgkmcnt(0)
	s_add_u32 s12, s12, s0
	s_addc_u32 s13, s13, s1
	s_add_u32 s0, s20, s0
	v_cmp_gt_i64_e64 s[6:7], s[4:5], 0
	s_addc_u32 s1, s21, s1
	s_mov_b64 s[28:29], 0
	s_and_b64 vcc, exec, s[6:7]
	s_cbranch_vccnz .LBB34_2
; %bb.1:
	s_sub_u32 s3, 1, s8
	s_subb_u32 s6, 0, s9
	s_mul_i32 s6, s4, s6
	s_mul_hi_u32 s7, s4, s3
	s_add_i32 s6, s7, s6
	s_mul_i32 s7, s5, s3
	s_add_i32 s29, s6, s7
	s_mul_i32 s28, s4, s3
.LBB34_2:
	s_load_dwordx2 s[20:21], s[0:1], 0x0
	v_mov_b32_e32 v1, 0
	v_cmp_gt_i64_e64 s[0:1], s[8:9], v[0:1]
	v_lshlrev_b32_e32 v14, 3, v0
	s_and_saveexec_b64 s[6:7], s[0:1]
	s_cbranch_execz .LBB34_5
; %bb.3:
	s_load_dwordx2 s[12:13], s[12:13], 0x0
	s_lshl_b64 s[28:29], s[28:29], 3
	s_lshl_b64 s[14:15], s[14:15], 3
	v_mad_u64_u32 v[2:3], s[30:31], s4, v0, 0
	s_waitcnt lgkmcnt(0)
	s_add_u32 s3, s12, s14
	v_mov_b32_e32 v4, v3
	s_addc_u32 s13, s13, s15
	v_mad_u64_u32 v[4:5], s[30:31], s5, v0, v[4:5]
	s_add_u32 s12, s3, s28
	v_mov_b32_e32 v3, v4
	s_addc_u32 s13, s13, s29
	v_lshl_add_u64 v[2:3], v[2:3], 3, s[12:13]
	s_lshl_b64 s[4:5], s[4:5], 13
	v_lshlrev_b32_e32 v6, 3, v0
	s_mov_b64 s[12:13], 0
	s_mov_b64 s[14:15], 0x400
	v_mov_b64_e32 v[4:5], v[0:1]
.LBB34_4:                               ; =>This Inner Loop Header: Depth=1
	flat_load_dwordx2 v[8:9], v[2:3]
	v_lshl_add_u64 v[4:5], v[4:5], 0, s[14:15]
	v_cmp_le_i64_e32 vcc, s[8:9], v[4:5]
	v_lshl_add_u64 v[2:3], v[2:3], 0, s[4:5]
	s_or_b64 s[12:13], vcc, s[12:13]
	s_waitcnt vmcnt(0) lgkmcnt(0)
	ds_write_b64 v6, v[8:9]
	v_add_u32_e32 v6, 0x2000, v6
	s_andn2_b64 exec, exec, s[12:13]
	s_cbranch_execnz .LBB34_4
.LBB34_5:
	s_or_b64 exec, exec, s[6:7]
	s_mov_b32 s25, 0
	v_mov_b64_e32 v[2:3], s[24:25]
	v_cmp_le_i64_e32 vcc, s[10:11], v[2:3]
	s_waitcnt lgkmcnt(0)
	s_barrier
	s_cbranch_vccnz .LBB34_25
; %bb.6:
	s_mul_i32 s3, s19, s2
	s_mul_hi_u32 s4, s18, s2
	s_add_i32 s3, s4, s3
	s_mul_i32 s2, s18, s2
	s_lshl_b64 s[2:3], s[2:3], 3
	s_add_u32 s12, s16, s2
	s_addc_u32 s13, s17, s3
	s_cmp_gt_i32 s8, 1
	s_mul_i32 s16, s27, s24
	s_mul_hi_u32 s17, s26, s24
	s_cselect_b64 s[14:15], -1, 0
	s_add_i32 s17, s17, s16
	s_mul_i32 s16, s26, s24
	s_lshl_b64 s[16:17], s[16:17], 3
	s_lshl_b64 s[18:19], s[22:23], 3
	s_add_u32 s16, s16, s18
	s_addc_u32 s17, s17, s19
	v_and_b32_e32 v2, 63, v0
	s_add_u32 s16, s20, s16
	v_mbcnt_lo_u32_b32 v8, -1, 0
	v_cmp_eq_u32_e64 s[4:5], 0, v2
	v_lshlrev_b32_e32 v2, 3, v0
	v_mov_b32_e32 v3, 0
	s_addc_u32 s17, s21, s17
	v_mbcnt_hi_u32_b32 v22, -1, v8
	v_mov_b32_e32 v8, 0x80
	v_cmp_gt_i32_e64 s[2:3], s8, v0
	v_lshrrev_b32_e32 v15, 3, v0
	v_cmp_eq_u32_e64 s[6:7], 0, v0
	v_lshl_add_u64 v[4:5], s[16:17], 0, v[2:3]
	s_lshl_b64 s[16:17], s[26:27], 9
	s_mov_b64 s[18:19], 0x2000
	v_mov_b32_e32 v2, 0x4008
	v_mov_b32_e32 v16, 0x4018
	;; [unrolled: 1-line block ×7, first 2 shown]
	s_mov_b64 s[20:21], 0x400
	v_mov_b64_e32 v[6:7], s[10:11]
	v_and_b32_e32 v23, 63, v22
	v_lshl_or_b32 v24, v22, 2, v8
	s_branch .LBB34_8
.LBB34_7:                               ;   in Loop: Header=BB34_8 Depth=1
	s_or_b64 exec, exec, s[10:11]
	s_add_u32 s24, s24, 64
	s_addc_u32 s25, s25, 0
	v_cmp_ge_i64_e32 vcc, s[24:25], v[6:7]
	v_lshl_add_u64 v[4:5], v[4:5], 0, s[16:17]
	s_cbranch_vccnz .LBB34_25
.LBB34_8:                               ; =>This Loop Header: Depth=1
                                        ;     Child Loop BB34_10 Depth 2
                                        ;     Child Loop BB34_24 Depth 2
	v_mov_b64_e32 v[8:9], 0
	s_and_saveexec_b64 s[10:11], s[2:3]
	s_cbranch_execz .LBB34_12
; %bb.9:                                ;   in Loop: Header=BB34_8 Depth=1
	v_mov_b64_e32 v[8:9], 0
	s_mov_b64 s[22:23], 0
	v_mov_b64_e32 v[10:11], v[4:5]
	v_mov_b32_e32 v12, v14
	v_mov_b32_e32 v13, v0
.LBB34_10:                              ;   Parent Loop BB34_8 Depth=1
                                        ; =>  This Inner Loop Header: Depth=2
	flat_load_dwordx2 v[26:27], v[10:11]
	ds_read_b64 v[28:29], v12
	v_add_u32_e32 v13, 0x400, v13
	v_cmp_le_i32_e32 vcc, s8, v13
	v_add_u32_e32 v12, 0x2000, v12
	v_lshl_add_u64 v[10:11], v[10:11], 0, s[18:19]
	s_or_b64 s[22:23], vcc, s[22:23]
	s_waitcnt vmcnt(0) lgkmcnt(0)
	v_fmac_f64_e32 v[8:9], v[28:29], v[26:27]
	s_andn2_b64 exec, exec, s[22:23]
	s_cbranch_execnz .LBB34_10
; %bb.11:                               ;   in Loop: Header=BB34_8 Depth=1
	s_or_b64 exec, exec, s[22:23]
.LBB34_12:                              ;   in Loop: Header=BB34_8 Depth=1
	s_or_b64 exec, exec, s[10:11]
	s_and_b64 vcc, exec, s[14:15]
	s_cbranch_vccz .LBB34_19
; %bb.13:                               ;   in Loop: Header=BB34_8 Depth=1
	v_cmp_ne_u32_e32 vcc, 63, v23
	s_nop 1
	v_addc_co_u32_e32 v10, vcc, 0, v22, vcc
	v_lshlrev_b32_e32 v11, 2, v10
	ds_bpermute_b32 v10, v11, v8
	ds_bpermute_b32 v11, v11, v9
	v_cmp_gt_u32_e32 vcc, 62, v23
	s_waitcnt lgkmcnt(0)
	v_add_f64 v[10:11], v[8:9], v[10:11]
	v_cndmask_b32_e64 v12, 0, 2, vcc
	v_add_lshl_u32 v13, v12, v22, 2
	ds_bpermute_b32 v12, v13, v10
	ds_bpermute_b32 v13, v13, v11
	v_cmp_gt_u32_e32 vcc, 60, v23
	s_waitcnt lgkmcnt(0)
	v_add_f64 v[10:11], v[10:11], v[12:13]
	v_cndmask_b32_e64 v12, 0, 4, vcc
	v_add_lshl_u32 v13, v12, v22, 2
	;; [unrolled: 7-line block ×4, first 2 shown]
	ds_bpermute_b32 v12, v13, v10
	ds_bpermute_b32 v13, v13, v11
	s_waitcnt lgkmcnt(0)
	v_add_f64 v[10:11], v[10:11], v[12:13]
	ds_bpermute_b32 v12, v24, v10
	ds_bpermute_b32 v13, v24, v11
	s_waitcnt lgkmcnt(0)
	v_add_f64 v[10:11], v[10:11], v[12:13]
	s_and_saveexec_b64 s[10:11], s[4:5]
; %bb.14:                               ;   in Loop: Header=BB34_8 Depth=1
	ds_write_b64 v15, v[10:11] offset:16384
; %bb.15:                               ;   in Loop: Header=BB34_8 Depth=1
	s_or_b64 exec, exec, s[10:11]
	s_mov_b64 s[22:23], 0
	s_mov_b64 s[10:11], 0
	s_waitcnt lgkmcnt(0)
	s_barrier
                                        ; implicit-def: $vgpr12_vgpr13
	s_and_saveexec_b64 s[26:27], s[6:7]
	s_xor_b64 s[26:27], exec, s[26:27]
	s_cbranch_execz .LBB34_17
; %bb.16:                               ;   in Loop: Header=BB34_8 Depth=1
	ds_read2_b64 v[26:29], v2 offset1:1
	ds_read2_b64 v[30:33], v16 offset1:1
	;; [unrolled: 1-line block ×4, first 2 shown]
	s_mov_b64 s[10:11], exec
	s_waitcnt lgkmcnt(0)
	v_add_f64 v[10:11], v[10:11], v[26:27]
	v_add_f64 v[10:11], v[10:11], v[28:29]
	s_waitcnt lgkmcnt(2)
	v_add_f64 v[10:11], v[10:11], v[30:31]
	v_add_f64 v[10:11], v[10:11], v[32:33]
	s_waitcnt lgkmcnt(1)
	v_add_f64 v[26:27], v[10:11], v[34:35]
	ds_read2_b64 v[10:13], v19 offset1:1
	v_add_f64 v[26:27], v[26:27], v[36:37]
	s_waitcnt lgkmcnt(1)
	v_add_f64 v[26:27], v[26:27], v[38:39]
	v_add_f64 v[30:31], v[26:27], v[40:41]
	ds_read2_b64 v[26:29], v20 offset1:1
	s_waitcnt lgkmcnt(0)
	v_add_f64 v[10:11], v[30:31], v[10:11]
	ds_read2_b64 v[30:33], v21 offset1:1
	v_add_f64 v[10:11], v[10:11], v[12:13]
	ds_read_b64 v[12:13], v3 offset:16504
	s_waitcnt lgkmcnt(2)
	v_add_f64 v[10:11], v[10:11], v[26:27]
	v_add_f64 v[10:11], v[10:11], v[28:29]
	s_waitcnt lgkmcnt(0)
	v_add_f64 v[10:11], v[10:11], v[30:31]
	v_add_f64 v[10:11], v[10:11], v[32:33]
	s_waitcnt lgkmcnt(0)
	v_add_f64 v[12:13], v[10:11], v[12:13]
.LBB34_17:                              ;   in Loop: Header=BB34_8 Depth=1
	s_or_b64 exec, exec, s[26:27]
	s_and_b64 vcc, exec, s[22:23]
	s_cbranch_vccnz .LBB34_20
.LBB34_18:                              ;   in Loop: Header=BB34_8 Depth=1
	v_mov_b64_e32 v[8:9], v[12:13]
	s_and_saveexec_b64 s[22:23], s[10:11]
	s_cbranch_execnz .LBB34_21
	s_branch .LBB34_22
.LBB34_19:                              ;   in Loop: Header=BB34_8 Depth=1
	s_mov_b64 s[10:11], 0
                                        ; implicit-def: $vgpr12_vgpr13
	s_cbranch_execz .LBB34_18
.LBB34_20:                              ;   in Loop: Header=BB34_8 Depth=1
	s_andn2_b64 s[10:11], s[10:11], exec
	s_and_b64 s[22:23], s[6:7], exec
	s_or_b64 s[10:11], s[10:11], s[22:23]
	s_and_saveexec_b64 s[22:23], s[10:11]
.LBB34_21:                              ;   in Loop: Header=BB34_8 Depth=1
	ds_write_b64 v3, v[8:9] offset:16384
.LBB34_22:                              ;   in Loop: Header=BB34_8 Depth=1
	s_or_b64 exec, exec, s[22:23]
	s_waitcnt lgkmcnt(0)
	s_barrier
	s_and_saveexec_b64 s[10:11], s[0:1]
	s_cbranch_execz .LBB34_7
; %bb.23:                               ;   in Loop: Header=BB34_8 Depth=1
	global_load_dwordx2 v[10:11], v3, s[12:13]
	ds_read_b64 v[12:13], v3 offset:16384
	s_mov_b64 s[22:23], 0
	v_mov_b64_e32 v[8:9], v[4:5]
	v_mov_b32_e32 v25, v14
	s_waitcnt vmcnt(0) lgkmcnt(0)
	v_mul_f64 v[10:11], v[12:13], -v[10:11]
	v_mov_b64_e32 v[12:13], v[0:1]
.LBB34_24:                              ;   Parent Loop BB34_8 Depth=1
                                        ; =>  This Inner Loop Header: Depth=2
	flat_load_dwordx2 v[26:27], v[8:9]
	ds_read_b64 v[28:29], v25
	v_lshl_add_u64 v[12:13], v[12:13], 0, s[20:21]
	v_cmp_le_i64_e32 vcc, s[8:9], v[12:13]
	v_add_u32_e32 v25, 0x2000, v25
	s_or_b64 s[22:23], vcc, s[22:23]
	s_waitcnt vmcnt(0) lgkmcnt(0)
	v_fmac_f64_e32 v[26:27], v[10:11], v[28:29]
	flat_store_dwordx2 v[8:9], v[26:27]
	v_lshl_add_u64 v[8:9], v[8:9], 0, s[18:19]
	s_andn2_b64 exec, exec, s[22:23]
	s_cbranch_execnz .LBB34_24
	s_branch .LBB34_7
.LBB34_25:
	s_endpgm
	.section	.rodata,"a",@progbits
	.p2align	6, 0x0
	.amdhsa_kernel _ZN9rocsolver6v33100L22larf_left_kernel_smallILi1024EdlPKPdEEvT1_S5_T2_lS5_lPKT0_lS6_lS5_l
		.amdhsa_group_segment_fixed_size 24576
		.amdhsa_private_segment_fixed_size 0
		.amdhsa_kernarg_size 96
		.amdhsa_user_sgpr_count 2
		.amdhsa_user_sgpr_dispatch_ptr 0
		.amdhsa_user_sgpr_queue_ptr 0
		.amdhsa_user_sgpr_kernarg_segment_ptr 1
		.amdhsa_user_sgpr_dispatch_id 0
		.amdhsa_user_sgpr_kernarg_preload_length 0
		.amdhsa_user_sgpr_kernarg_preload_offset 0
		.amdhsa_user_sgpr_private_segment_size 0
		.amdhsa_uses_dynamic_stack 0
		.amdhsa_enable_private_segment 0
		.amdhsa_system_sgpr_workgroup_id_x 1
		.amdhsa_system_sgpr_workgroup_id_y 1
		.amdhsa_system_sgpr_workgroup_id_z 0
		.amdhsa_system_sgpr_workgroup_info 0
		.amdhsa_system_vgpr_workitem_id 0
		.amdhsa_next_free_vgpr 42
		.amdhsa_next_free_sgpr 32
		.amdhsa_accum_offset 44
		.amdhsa_reserve_vcc 1
		.amdhsa_float_round_mode_32 0
		.amdhsa_float_round_mode_16_64 0
		.amdhsa_float_denorm_mode_32 3
		.amdhsa_float_denorm_mode_16_64 3
		.amdhsa_dx10_clamp 1
		.amdhsa_ieee_mode 1
		.amdhsa_fp16_overflow 0
		.amdhsa_tg_split 0
		.amdhsa_exception_fp_ieee_invalid_op 0
		.amdhsa_exception_fp_denorm_src 0
		.amdhsa_exception_fp_ieee_div_zero 0
		.amdhsa_exception_fp_ieee_overflow 0
		.amdhsa_exception_fp_ieee_underflow 0
		.amdhsa_exception_fp_ieee_inexact 0
		.amdhsa_exception_int_div_zero 0
	.end_amdhsa_kernel
	.section	.text._ZN9rocsolver6v33100L22larf_left_kernel_smallILi1024EdlPKPdEEvT1_S5_T2_lS5_lPKT0_lS6_lS5_l,"axG",@progbits,_ZN9rocsolver6v33100L22larf_left_kernel_smallILi1024EdlPKPdEEvT1_S5_T2_lS5_lPKT0_lS6_lS5_l,comdat
.Lfunc_end34:
	.size	_ZN9rocsolver6v33100L22larf_left_kernel_smallILi1024EdlPKPdEEvT1_S5_T2_lS5_lPKT0_lS6_lS5_l, .Lfunc_end34-_ZN9rocsolver6v33100L22larf_left_kernel_smallILi1024EdlPKPdEEvT1_S5_T2_lS5_lPKT0_lS6_lS5_l
                                        ; -- End function
	.set _ZN9rocsolver6v33100L22larf_left_kernel_smallILi1024EdlPKPdEEvT1_S5_T2_lS5_lPKT0_lS6_lS5_l.num_vgpr, 42
	.set _ZN9rocsolver6v33100L22larf_left_kernel_smallILi1024EdlPKPdEEvT1_S5_T2_lS5_lPKT0_lS6_lS5_l.num_agpr, 0
	.set _ZN9rocsolver6v33100L22larf_left_kernel_smallILi1024EdlPKPdEEvT1_S5_T2_lS5_lPKT0_lS6_lS5_l.numbered_sgpr, 32
	.set _ZN9rocsolver6v33100L22larf_left_kernel_smallILi1024EdlPKPdEEvT1_S5_T2_lS5_lPKT0_lS6_lS5_l.num_named_barrier, 0
	.set _ZN9rocsolver6v33100L22larf_left_kernel_smallILi1024EdlPKPdEEvT1_S5_T2_lS5_lPKT0_lS6_lS5_l.private_seg_size, 0
	.set _ZN9rocsolver6v33100L22larf_left_kernel_smallILi1024EdlPKPdEEvT1_S5_T2_lS5_lPKT0_lS6_lS5_l.uses_vcc, 1
	.set _ZN9rocsolver6v33100L22larf_left_kernel_smallILi1024EdlPKPdEEvT1_S5_T2_lS5_lPKT0_lS6_lS5_l.uses_flat_scratch, 0
	.set _ZN9rocsolver6v33100L22larf_left_kernel_smallILi1024EdlPKPdEEvT1_S5_T2_lS5_lPKT0_lS6_lS5_l.has_dyn_sized_stack, 0
	.set _ZN9rocsolver6v33100L22larf_left_kernel_smallILi1024EdlPKPdEEvT1_S5_T2_lS5_lPKT0_lS6_lS5_l.has_recursion, 0
	.set _ZN9rocsolver6v33100L22larf_left_kernel_smallILi1024EdlPKPdEEvT1_S5_T2_lS5_lPKT0_lS6_lS5_l.has_indirect_call, 0
	.section	.AMDGPU.csdata,"",@progbits
; Kernel info:
; codeLenInByte = 1444
; TotalNumSgprs: 38
; NumVgprs: 42
; NumAgprs: 0
; TotalNumVgprs: 42
; ScratchSize: 0
; MemoryBound: 0
; FloatMode: 240
; IeeeMode: 1
; LDSByteSize: 24576 bytes/workgroup (compile time only)
; SGPRBlocks: 4
; VGPRBlocks: 5
; NumSGPRsForWavesPerEU: 38
; NumVGPRsForWavesPerEU: 42
; AccumOffset: 44
; Occupancy: 8
; WaveLimiterHint : 0
; COMPUTE_PGM_RSRC2:SCRATCH_EN: 0
; COMPUTE_PGM_RSRC2:USER_SGPR: 2
; COMPUTE_PGM_RSRC2:TRAP_HANDLER: 0
; COMPUTE_PGM_RSRC2:TGID_X_EN: 1
; COMPUTE_PGM_RSRC2:TGID_Y_EN: 1
; COMPUTE_PGM_RSRC2:TGID_Z_EN: 0
; COMPUTE_PGM_RSRC2:TIDIG_COMP_CNT: 0
; COMPUTE_PGM_RSRC3_GFX90A:ACCUM_OFFSET: 10
; COMPUTE_PGM_RSRC3_GFX90A:TG_SPLIT: 0
	.section	.text._ZN9rocsolver6v33100L23larf_right_kernel_smallILi64EdlPKPdEEvT1_S5_T2_lS5_lPKT0_lS6_lS5_l,"axG",@progbits,_ZN9rocsolver6v33100L23larf_right_kernel_smallILi64EdlPKPdEEvT1_S5_T2_lS5_lPKT0_lS6_lS5_l,comdat
	.globl	_ZN9rocsolver6v33100L23larf_right_kernel_smallILi64EdlPKPdEEvT1_S5_T2_lS5_lPKT0_lS6_lS5_l ; -- Begin function _ZN9rocsolver6v33100L23larf_right_kernel_smallILi64EdlPKPdEEvT1_S5_T2_lS5_lPKT0_lS6_lS5_l
	.p2align	8
	.type	_ZN9rocsolver6v33100L23larf_right_kernel_smallILi64EdlPKPdEEvT1_S5_T2_lS5_lPKT0_lS6_lS5_l,@function
_ZN9rocsolver6v33100L23larf_right_kernel_smallILi64EdlPKPdEEvT1_S5_T2_lS5_lPKT0_lS6_lS5_l: ; @_ZN9rocsolver6v33100L23larf_right_kernel_smallILi64EdlPKPdEEvT1_S5_T2_lS5_lPKT0_lS6_lS5_l
; %bb.0:
	s_mov_b32 s20, s3
	s_load_dwordx8 s[4:11], s[0:1], 0x0
	s_load_dwordx2 s[24:25], s[0:1], 0x20
	s_load_dwordx8 s[12:19], s[0:1], 0x30
	s_load_dwordx2 s[22:23], s[0:1], 0x50
	s_mov_b32 s3, 0
	s_lshl_b64 s[0:1], s[2:3], 3
	s_waitcnt lgkmcnt(0)
	s_add_u32 s26, s8, s0
	s_addc_u32 s27, s9, s1
	s_add_u32 s0, s16, s0
	v_cmp_gt_i64_e64 s[8:9], s[24:25], 0
	s_addc_u32 s1, s17, s1
	s_mov_b64 s[28:29], 0
	s_and_b64 vcc, exec, s[8:9]
	s_cbranch_vccnz .LBB35_2
; %bb.1:
	s_sub_u32 s3, 1, s6
	s_subb_u32 s8, 0, s7
	s_mul_i32 s8, s24, s8
	s_mul_hi_u32 s9, s24, s3
	s_add_i32 s8, s9, s8
	s_mul_i32 s9, s25, s3
	s_add_i32 s29, s8, s9
	s_mul_i32 s28, s24, s3
.LBB35_2:
	s_load_dwordx2 s[16:17], s[0:1], 0x0
	v_mov_b32_e32 v1, 0
	v_cmp_gt_i64_e64 s[0:1], s[6:7], v[0:1]
	v_lshlrev_b32_e32 v12, 3, v0
	s_and_saveexec_b64 s[8:9], s[0:1]
	s_cbranch_execz .LBB35_5
; %bb.3:
	s_load_dwordx2 s[26:27], s[26:27], 0x0
	s_lshl_b64 s[28:29], s[28:29], 3
	s_lshl_b64 s[10:11], s[10:11], 3
	v_mad_u64_u32 v[2:3], s[30:31], s24, v0, 0
	s_waitcnt lgkmcnt(0)
	s_add_u32 s3, s26, s10
	v_mov_b32_e32 v4, v3
	s_addc_u32 s11, s27, s11
	v_mad_u64_u32 v[4:5], s[30:31], s25, v0, v[4:5]
	s_add_u32 s10, s3, s28
	v_mov_b32_e32 v3, v4
	s_addc_u32 s11, s11, s29
	v_lshl_add_u64 v[2:3], v[2:3], 3, s[10:11]
	s_lshl_b64 s[10:11], s[24:25], 9
	v_lshlrev_b32_e32 v6, 3, v0
	s_mov_b64 s[24:25], 0
	v_mov_b64_e32 v[4:5], v[0:1]
.LBB35_4:                               ; =>This Inner Loop Header: Depth=1
	flat_load_dwordx2 v[8:9], v[2:3]
	v_lshl_add_u64 v[4:5], v[4:5], 0, 64
	v_cmp_le_i64_e32 vcc, s[6:7], v[4:5]
	v_lshl_add_u64 v[2:3], v[2:3], 0, s[10:11]
	s_or_b64 s[24:25], vcc, s[24:25]
	s_waitcnt vmcnt(0) lgkmcnt(0)
	ds_write_b64 v6, v[8:9]
	v_add_u32_e32 v6, 0x200, v6
	s_andn2_b64 exec, exec, s[24:25]
	s_cbranch_execnz .LBB35_4
.LBB35_5:
	s_or_b64 exec, exec, s[8:9]
	s_mov_b32 s21, 0
	v_mov_b64_e32 v[2:3], s[20:21]
	v_cmp_le_i64_e32 vcc, s[4:5], v[2:3]
	s_waitcnt lgkmcnt(0)
	; wave barrier
	s_cbranch_vccnz .LBB35_23
; %bb.6:
	s_lshl_b64 s[18:19], s[18:19], 3
	s_add_u32 s24, s16, s18
	s_mul_i32 s3, s15, s2
	s_mul_hi_u32 s8, s14, s2
	s_addc_u32 s25, s17, s19
	s_add_i32 s3, s8, s3
	s_mul_i32 s2, s14, s2
	s_lshl_b64 s[2:3], s[2:3], 3
	s_add_u32 s8, s12, s2
	v_mad_u64_u32 v[2:3], s[14:15], s22, v0, 0
	s_addc_u32 s9, s13, s3
	v_mov_b32_e32 v4, v3
	s_cmp_gt_i32 s6, 1
	v_mad_u64_u32 v[4:5], s[14:15], s23, v0, v[4:5]
	s_cselect_b64 s[10:11], -1, 0
	s_lshl_b32 s26, s22, 6
	s_lshl_b64 s[14:15], s[20:21], 3
	s_add_u32 s14, s16, s14
	s_addc_u32 s15, s17, s15
	s_add_u32 s14, s14, s18
	v_mbcnt_lo_u32_b32 v6, -1, 0
	v_mov_b32_e32 v3, v4
	s_addc_u32 s15, s15, s19
	v_mbcnt_hi_u32_b32 v16, -1, v6
	v_mov_b32_e32 v6, 0x80
	v_cmp_gt_i32_e64 s[2:3], s6, v0
	v_cmp_eq_u32_e64 s[12:13], 0, v0
	v_lshrrev_b32_e32 v13, 3, v0
	v_mul_lo_u32 v14, v0, s22
	v_lshl_add_u64 v[2:3], v[2:3], 3, s[14:15]
	s_lshl_b64 s[14:15], s[22:23], 9
	v_mov_b32_e32 v15, 0
	s_mov_b64 s[16:17], 0x200
	v_mov_b64_e32 v[4:5], s[4:5]
	v_and_b32_e32 v17, 63, v16
	v_lshl_or_b32 v18, v16, 2, v6
	s_branch .LBB35_8
.LBB35_7:                               ;   in Loop: Header=BB35_8 Depth=1
	s_or_b64 exec, exec, s[4:5]
	s_add_u32 s20, s20, 64
	s_addc_u32 s21, s21, 0
	v_cmp_ge_i64_e32 vcc, s[20:21], v[4:5]
	v_lshl_add_u64 v[2:3], v[2:3], 0, s[16:17]
	s_cbranch_vccnz .LBB35_23
.LBB35_8:                               ; =>This Loop Header: Depth=1
                                        ;     Child Loop BB35_10 Depth 2
                                        ;     Child Loop BB35_22 Depth 2
	v_mov_b64_e32 v[6:7], 0
	s_and_saveexec_b64 s[4:5], s[2:3]
	s_cbranch_execz .LBB35_12
; %bb.9:                                ;   in Loop: Header=BB35_8 Depth=1
	s_lshl_b64 s[18:19], s[20:21], 3
	s_add_u32 s18, s24, s18
	s_addc_u32 s19, s25, s19
	v_mov_b64_e32 v[6:7], 0
	s_mov_b64 s[22:23], 0
	v_mov_b32_e32 v8, v14
	v_mov_b32_e32 v10, v12
	;; [unrolled: 1-line block ×3, first 2 shown]
.LBB35_10:                              ;   Parent Loop BB35_8 Depth=1
                                        ; =>  This Inner Loop Header: Depth=2
	v_ashrrev_i32_e32 v9, 31, v8
	v_lshl_add_u64 v[20:21], v[8:9], 3, s[18:19]
	flat_load_dwordx2 v[20:21], v[20:21]
	ds_read_b64 v[22:23], v10
	v_add_u32_e32 v11, 64, v11
	v_cmp_le_i32_e32 vcc, s6, v11
	v_add_u32_e32 v10, 0x200, v10
	v_add_u32_e32 v8, s26, v8
	s_or_b64 s[22:23], vcc, s[22:23]
	s_waitcnt vmcnt(0) lgkmcnt(0)
	v_fmac_f64_e32 v[6:7], v[22:23], v[20:21]
	s_andn2_b64 exec, exec, s[22:23]
	s_cbranch_execnz .LBB35_10
; %bb.11:                               ;   in Loop: Header=BB35_8 Depth=1
	s_or_b64 exec, exec, s[22:23]
.LBB35_12:                              ;   in Loop: Header=BB35_8 Depth=1
	s_or_b64 exec, exec, s[4:5]
	s_and_b64 vcc, exec, s[10:11]
	s_cbranch_vccz .LBB35_17
; %bb.13:                               ;   in Loop: Header=BB35_8 Depth=1
	v_cmp_ne_u32_e32 vcc, 63, v17
	s_nop 1
	v_addc_co_u32_e32 v8, vcc, 0, v16, vcc
	v_lshlrev_b32_e32 v9, 2, v8
	ds_bpermute_b32 v8, v9, v6
	ds_bpermute_b32 v9, v9, v7
	v_cmp_gt_u32_e32 vcc, 62, v17
	s_waitcnt lgkmcnt(0)
	v_add_f64 v[8:9], v[6:7], v[8:9]
	v_cndmask_b32_e64 v10, 0, 2, vcc
	v_add_lshl_u32 v11, v10, v16, 2
	ds_bpermute_b32 v10, v11, v8
	ds_bpermute_b32 v11, v11, v9
	v_cmp_gt_u32_e32 vcc, 60, v17
	s_waitcnt lgkmcnt(0)
	v_add_f64 v[8:9], v[8:9], v[10:11]
	v_cndmask_b32_e64 v10, 0, 4, vcc
	v_add_lshl_u32 v11, v10, v16, 2
	;; [unrolled: 7-line block ×4, first 2 shown]
	ds_bpermute_b32 v10, v11, v8
	ds_bpermute_b32 v11, v11, v9
	s_waitcnt lgkmcnt(0)
	v_add_f64 v[8:9], v[8:9], v[10:11]
	ds_bpermute_b32 v10, v18, v8
	ds_bpermute_b32 v11, v18, v9
	s_waitcnt lgkmcnt(0)
	v_add_f64 v[8:9], v[8:9], v[10:11]
	s_and_saveexec_b64 s[4:5], s[12:13]
; %bb.14:                               ;   in Loop: Header=BB35_8 Depth=1
	ds_write_b64 v13, v[8:9] offset:16384
; %bb.15:                               ;   in Loop: Header=BB35_8 Depth=1
	s_or_b64 exec, exec, s[4:5]
	s_waitcnt lgkmcnt(0)
	; wave barrier
	s_mov_b64 s[4:5], s[12:13]
.LBB35_16:                              ;   in Loop: Header=BB35_8 Depth=1
	v_mov_b64_e32 v[6:7], v[8:9]
	s_and_saveexec_b64 s[18:19], s[4:5]
	s_cbranch_execnz .LBB35_19
	s_branch .LBB35_20
.LBB35_17:                              ;   in Loop: Header=BB35_8 Depth=1
	s_mov_b64 s[4:5], 0
                                        ; implicit-def: $vgpr8_vgpr9
	s_cbranch_execz .LBB35_16
; %bb.18:                               ;   in Loop: Header=BB35_8 Depth=1
	s_andn2_b64 s[4:5], s[4:5], exec
	s_and_b64 s[18:19], s[12:13], exec
	s_or_b64 s[4:5], s[4:5], s[18:19]
	s_and_saveexec_b64 s[18:19], s[4:5]
.LBB35_19:                              ;   in Loop: Header=BB35_8 Depth=1
	ds_write_b64 v15, v[6:7] offset:16384
.LBB35_20:                              ;   in Loop: Header=BB35_8 Depth=1
	s_or_b64 exec, exec, s[18:19]
	s_waitcnt lgkmcnt(0)
	; wave barrier
	s_and_saveexec_b64 s[4:5], s[0:1]
	s_cbranch_execz .LBB35_7
; %bb.21:                               ;   in Loop: Header=BB35_8 Depth=1
	global_load_dwordx2 v[8:9], v15, s[8:9]
	ds_read_b64 v[10:11], v15 offset:16384
	s_mov_b64 s[18:19], 0
	v_mov_b32_e32 v19, v12
	v_mov_b64_e32 v[6:7], v[2:3]
	s_waitcnt vmcnt(0) lgkmcnt(0)
	v_mul_f64 v[8:9], v[10:11], -v[8:9]
	v_mov_b64_e32 v[10:11], v[0:1]
.LBB35_22:                              ;   Parent Loop BB35_8 Depth=1
                                        ; =>  This Inner Loop Header: Depth=2
	flat_load_dwordx2 v[20:21], v[6:7]
	ds_read_b64 v[22:23], v19
	v_lshl_add_u64 v[10:11], v[10:11], 0, 64
	v_cmp_le_i64_e32 vcc, s[6:7], v[10:11]
	s_or_b64 s[18:19], vcc, s[18:19]
	v_add_u32_e32 v19, 0x200, v19
	s_waitcnt vmcnt(0) lgkmcnt(0)
	v_fmac_f64_e32 v[20:21], v[8:9], v[22:23]
	flat_store_dwordx2 v[6:7], v[20:21]
	v_lshl_add_u64 v[6:7], v[6:7], 0, s[14:15]
	s_andn2_b64 exec, exec, s[18:19]
	s_cbranch_execnz .LBB35_22
	s_branch .LBB35_7
.LBB35_23:
	s_endpgm
	.section	.rodata,"a",@progbits
	.p2align	6, 0x0
	.amdhsa_kernel _ZN9rocsolver6v33100L23larf_right_kernel_smallILi64EdlPKPdEEvT1_S5_T2_lS5_lPKT0_lS6_lS5_l
		.amdhsa_group_segment_fixed_size 16392
		.amdhsa_private_segment_fixed_size 0
		.amdhsa_kernarg_size 96
		.amdhsa_user_sgpr_count 2
		.amdhsa_user_sgpr_dispatch_ptr 0
		.amdhsa_user_sgpr_queue_ptr 0
		.amdhsa_user_sgpr_kernarg_segment_ptr 1
		.amdhsa_user_sgpr_dispatch_id 0
		.amdhsa_user_sgpr_kernarg_preload_length 0
		.amdhsa_user_sgpr_kernarg_preload_offset 0
		.amdhsa_user_sgpr_private_segment_size 0
		.amdhsa_uses_dynamic_stack 0
		.amdhsa_enable_private_segment 0
		.amdhsa_system_sgpr_workgroup_id_x 1
		.amdhsa_system_sgpr_workgroup_id_y 1
		.amdhsa_system_sgpr_workgroup_id_z 0
		.amdhsa_system_sgpr_workgroup_info 0
		.amdhsa_system_vgpr_workitem_id 0
		.amdhsa_next_free_vgpr 129
		.amdhsa_next_free_sgpr 96
		.amdhsa_accum_offset 24
		.amdhsa_reserve_vcc 1
		.amdhsa_float_round_mode_32 0
		.amdhsa_float_round_mode_16_64 0
		.amdhsa_float_denorm_mode_32 3
		.amdhsa_float_denorm_mode_16_64 3
		.amdhsa_dx10_clamp 1
		.amdhsa_ieee_mode 1
		.amdhsa_fp16_overflow 0
		.amdhsa_tg_split 0
		.amdhsa_exception_fp_ieee_invalid_op 0
		.amdhsa_exception_fp_denorm_src 0
		.amdhsa_exception_fp_ieee_div_zero 0
		.amdhsa_exception_fp_ieee_overflow 0
		.amdhsa_exception_fp_ieee_underflow 0
		.amdhsa_exception_fp_ieee_inexact 0
		.amdhsa_exception_int_div_zero 0
	.end_amdhsa_kernel
	.section	.text._ZN9rocsolver6v33100L23larf_right_kernel_smallILi64EdlPKPdEEvT1_S5_T2_lS5_lPKT0_lS6_lS5_l,"axG",@progbits,_ZN9rocsolver6v33100L23larf_right_kernel_smallILi64EdlPKPdEEvT1_S5_T2_lS5_lPKT0_lS6_lS5_l,comdat
.Lfunc_end35:
	.size	_ZN9rocsolver6v33100L23larf_right_kernel_smallILi64EdlPKPdEEvT1_S5_T2_lS5_lPKT0_lS6_lS5_l, .Lfunc_end35-_ZN9rocsolver6v33100L23larf_right_kernel_smallILi64EdlPKPdEEvT1_S5_T2_lS5_lPKT0_lS6_lS5_l
                                        ; -- End function
	.set _ZN9rocsolver6v33100L23larf_right_kernel_smallILi64EdlPKPdEEvT1_S5_T2_lS5_lPKT0_lS6_lS5_l.num_vgpr, 24
	.set _ZN9rocsolver6v33100L23larf_right_kernel_smallILi64EdlPKPdEEvT1_S5_T2_lS5_lPKT0_lS6_lS5_l.num_agpr, 0
	.set _ZN9rocsolver6v33100L23larf_right_kernel_smallILi64EdlPKPdEEvT1_S5_T2_lS5_lPKT0_lS6_lS5_l.numbered_sgpr, 32
	.set _ZN9rocsolver6v33100L23larf_right_kernel_smallILi64EdlPKPdEEvT1_S5_T2_lS5_lPKT0_lS6_lS5_l.num_named_barrier, 0
	.set _ZN9rocsolver6v33100L23larf_right_kernel_smallILi64EdlPKPdEEvT1_S5_T2_lS5_lPKT0_lS6_lS5_l.private_seg_size, 0
	.set _ZN9rocsolver6v33100L23larf_right_kernel_smallILi64EdlPKPdEEvT1_S5_T2_lS5_lPKT0_lS6_lS5_l.uses_vcc, 1
	.set _ZN9rocsolver6v33100L23larf_right_kernel_smallILi64EdlPKPdEEvT1_S5_T2_lS5_lPKT0_lS6_lS5_l.uses_flat_scratch, 0
	.set _ZN9rocsolver6v33100L23larf_right_kernel_smallILi64EdlPKPdEEvT1_S5_T2_lS5_lPKT0_lS6_lS5_l.has_dyn_sized_stack, 0
	.set _ZN9rocsolver6v33100L23larf_right_kernel_smallILi64EdlPKPdEEvT1_S5_T2_lS5_lPKT0_lS6_lS5_l.has_recursion, 0
	.set _ZN9rocsolver6v33100L23larf_right_kernel_smallILi64EdlPKPdEEvT1_S5_T2_lS5_lPKT0_lS6_lS5_l.has_indirect_call, 0
	.section	.AMDGPU.csdata,"",@progbits
; Kernel info:
; codeLenInByte = 1140
; TotalNumSgprs: 38
; NumVgprs: 24
; NumAgprs: 0
; TotalNumVgprs: 24
; ScratchSize: 0
; MemoryBound: 0
; FloatMode: 240
; IeeeMode: 1
; LDSByteSize: 16392 bytes/workgroup (compile time only)
; SGPRBlocks: 12
; VGPRBlocks: 16
; NumSGPRsForWavesPerEU: 102
; NumVGPRsForWavesPerEU: 129
; AccumOffset: 24
; Occupancy: 3
; WaveLimiterHint : 1
; COMPUTE_PGM_RSRC2:SCRATCH_EN: 0
; COMPUTE_PGM_RSRC2:USER_SGPR: 2
; COMPUTE_PGM_RSRC2:TRAP_HANDLER: 0
; COMPUTE_PGM_RSRC2:TGID_X_EN: 1
; COMPUTE_PGM_RSRC2:TGID_Y_EN: 1
; COMPUTE_PGM_RSRC2:TGID_Z_EN: 0
; COMPUTE_PGM_RSRC2:TIDIG_COMP_CNT: 0
; COMPUTE_PGM_RSRC3_GFX90A:ACCUM_OFFSET: 5
; COMPUTE_PGM_RSRC3_GFX90A:TG_SPLIT: 0
	.section	.text._ZN9rocsolver6v33100L23larf_right_kernel_smallILi128EdlPKPdEEvT1_S5_T2_lS5_lPKT0_lS6_lS5_l,"axG",@progbits,_ZN9rocsolver6v33100L23larf_right_kernel_smallILi128EdlPKPdEEvT1_S5_T2_lS5_lPKT0_lS6_lS5_l,comdat
	.globl	_ZN9rocsolver6v33100L23larf_right_kernel_smallILi128EdlPKPdEEvT1_S5_T2_lS5_lPKT0_lS6_lS5_l ; -- Begin function _ZN9rocsolver6v33100L23larf_right_kernel_smallILi128EdlPKPdEEvT1_S5_T2_lS5_lPKT0_lS6_lS5_l
	.p2align	8
	.type	_ZN9rocsolver6v33100L23larf_right_kernel_smallILi128EdlPKPdEEvT1_S5_T2_lS5_lPKT0_lS6_lS5_l,@function
_ZN9rocsolver6v33100L23larf_right_kernel_smallILi128EdlPKPdEEvT1_S5_T2_lS5_lPKT0_lS6_lS5_l: ; @_ZN9rocsolver6v33100L23larf_right_kernel_smallILi128EdlPKPdEEvT1_S5_T2_lS5_lPKT0_lS6_lS5_l
; %bb.0:
	s_mov_b32 s24, s3
	s_load_dwordx8 s[8:15], s[0:1], 0x0
	s_load_dwordx2 s[4:5], s[0:1], 0x20
	s_load_dwordx8 s[16:23], s[0:1], 0x30
	s_load_dwordx2 s[26:27], s[0:1], 0x50
	s_mov_b32 s3, 0
	s_lshl_b64 s[0:1], s[2:3], 3
	s_waitcnt lgkmcnt(0)
	s_add_u32 s12, s12, s0
	s_addc_u32 s13, s13, s1
	s_add_u32 s0, s20, s0
	v_cmp_gt_i64_e64 s[6:7], s[4:5], 0
	s_addc_u32 s1, s21, s1
	s_mov_b64 s[28:29], 0
	s_and_b64 vcc, exec, s[6:7]
	s_cbranch_vccnz .LBB36_2
; %bb.1:
	s_sub_u32 s3, 1, s10
	s_subb_u32 s6, 0, s11
	s_mul_i32 s6, s4, s6
	s_mul_hi_u32 s7, s4, s3
	s_add_i32 s6, s7, s6
	s_mul_i32 s7, s5, s3
	s_add_i32 s29, s6, s7
	s_mul_i32 s28, s4, s3
.LBB36_2:
	s_load_dwordx2 s[20:21], s[0:1], 0x0
	v_mov_b32_e32 v1, 0
	v_cmp_gt_i64_e64 s[0:1], s[10:11], v[0:1]
	v_lshlrev_b32_e32 v12, 3, v0
	s_and_saveexec_b64 s[6:7], s[0:1]
	s_cbranch_execz .LBB36_5
; %bb.3:
	s_load_dwordx2 s[12:13], s[12:13], 0x0
	s_lshl_b64 s[28:29], s[28:29], 3
	s_lshl_b64 s[14:15], s[14:15], 3
	v_mad_u64_u32 v[2:3], s[30:31], s4, v0, 0
	s_waitcnt lgkmcnt(0)
	s_add_u32 s3, s12, s14
	v_mov_b32_e32 v4, v3
	s_addc_u32 s13, s13, s15
	v_mad_u64_u32 v[4:5], s[30:31], s5, v0, v[4:5]
	s_add_u32 s12, s3, s28
	v_mov_b32_e32 v3, v4
	s_addc_u32 s13, s13, s29
	v_lshl_add_u64 v[2:3], v[2:3], 3, s[12:13]
	s_lshl_b64 s[4:5], s[4:5], 10
	v_lshlrev_b32_e32 v6, 3, v0
	s_mov_b64 s[12:13], 0
	s_mov_b64 s[14:15], 0x80
	v_mov_b64_e32 v[4:5], v[0:1]
.LBB36_4:                               ; =>This Inner Loop Header: Depth=1
	flat_load_dwordx2 v[8:9], v[2:3]
	v_lshl_add_u64 v[4:5], v[4:5], 0, s[14:15]
	v_cmp_le_i64_e32 vcc, s[10:11], v[4:5]
	v_lshl_add_u64 v[2:3], v[2:3], 0, s[4:5]
	s_or_b64 s[12:13], vcc, s[12:13]
	s_waitcnt vmcnt(0) lgkmcnt(0)
	ds_write_b64 v6, v[8:9]
	v_add_u32_e32 v6, 0x400, v6
	s_andn2_b64 exec, exec, s[12:13]
	s_cbranch_execnz .LBB36_4
.LBB36_5:
	s_or_b64 exec, exec, s[6:7]
	s_mov_b32 s25, 0
	v_mov_b64_e32 v[2:3], s[24:25]
	v_cmp_le_i64_e32 vcc, s[8:9], v[2:3]
	s_waitcnt lgkmcnt(0)
	s_barrier
	s_cbranch_vccnz .LBB36_25
; %bb.6:
	s_lshl_b64 s[22:23], s[22:23], 3
	s_add_u32 s28, s20, s22
	s_mul_i32 s3, s19, s2
	s_mul_hi_u32 s4, s18, s2
	s_addc_u32 s29, s21, s23
	s_add_i32 s3, s4, s3
	s_mul_i32 s2, s18, s2
	s_lshl_b64 s[2:3], s[2:3], 3
	s_add_u32 s12, s16, s2
	v_and_b32_e32 v2, 63, v0
	s_addc_u32 s13, s17, s3
	v_cmp_eq_u32_e64 s[4:5], 0, v2
	v_mad_u64_u32 v[2:3], s[16:17], s26, v0, 0
	v_mov_b32_e32 v4, v3
	s_cmp_gt_i32 s10, 1
	v_mad_u64_u32 v[4:5], s[16:17], s27, v0, v[4:5]
	s_cselect_b64 s[14:15], -1, 0
	s_lshl_b32 s30, s26, 7
	s_lshl_b64 s[16:17], s[24:25], 3
	s_add_u32 s16, s20, s16
	s_addc_u32 s17, s21, s17
	s_add_u32 s16, s16, s22
	v_mbcnt_lo_u32_b32 v6, -1, 0
	v_mov_b32_e32 v3, v4
	s_addc_u32 s17, s17, s23
	v_mbcnt_hi_u32_b32 v16, -1, v6
	v_mov_b32_e32 v6, 0x80
	v_cmp_gt_i32_e64 s[2:3], s10, v0
	v_lshrrev_b32_e32 v13, 3, v0
	v_cmp_eq_u32_e64 s[6:7], 0, v0
	v_mul_lo_u32 v14, v0, s26
	v_lshl_add_u64 v[2:3], v[2:3], 3, s[16:17]
	s_lshl_b64 s[16:17], s[26:27], 10
	v_mov_b32_e32 v15, 0
	s_mov_b64 s[18:19], 0x80
	s_mov_b64 s[20:21], 0x200
	v_mov_b64_e32 v[4:5], s[8:9]
	v_and_b32_e32 v17, 63, v16
	v_lshl_or_b32 v18, v16, 2, v6
	s_branch .LBB36_8
.LBB36_7:                               ;   in Loop: Header=BB36_8 Depth=1
	s_or_b64 exec, exec, s[8:9]
	s_add_u32 s24, s24, 64
	s_addc_u32 s25, s25, 0
	v_cmp_ge_i64_e32 vcc, s[24:25], v[4:5]
	v_lshl_add_u64 v[2:3], v[2:3], 0, s[20:21]
	s_cbranch_vccnz .LBB36_25
.LBB36_8:                               ; =>This Loop Header: Depth=1
                                        ;     Child Loop BB36_10 Depth 2
                                        ;     Child Loop BB36_24 Depth 2
	v_mov_b64_e32 v[6:7], 0
	s_and_saveexec_b64 s[8:9], s[2:3]
	s_cbranch_execz .LBB36_12
; %bb.9:                                ;   in Loop: Header=BB36_8 Depth=1
	s_lshl_b64 s[22:23], s[24:25], 3
	s_add_u32 s22, s28, s22
	s_addc_u32 s23, s29, s23
	v_mov_b64_e32 v[6:7], 0
	s_mov_b64 s[26:27], 0
	v_mov_b32_e32 v8, v14
	v_mov_b32_e32 v10, v12
	;; [unrolled: 1-line block ×3, first 2 shown]
.LBB36_10:                              ;   Parent Loop BB36_8 Depth=1
                                        ; =>  This Inner Loop Header: Depth=2
	v_ashrrev_i32_e32 v9, 31, v8
	v_lshl_add_u64 v[20:21], v[8:9], 3, s[22:23]
	flat_load_dwordx2 v[20:21], v[20:21]
	ds_read_b64 v[22:23], v10
	v_add_u32_e32 v11, 0x80, v11
	v_cmp_le_i32_e32 vcc, s10, v11
	v_add_u32_e32 v10, 0x400, v10
	v_add_u32_e32 v8, s30, v8
	s_or_b64 s[26:27], vcc, s[26:27]
	s_waitcnt vmcnt(0) lgkmcnt(0)
	v_fmac_f64_e32 v[6:7], v[22:23], v[20:21]
	s_andn2_b64 exec, exec, s[26:27]
	s_cbranch_execnz .LBB36_10
; %bb.11:                               ;   in Loop: Header=BB36_8 Depth=1
	s_or_b64 exec, exec, s[26:27]
.LBB36_12:                              ;   in Loop: Header=BB36_8 Depth=1
	s_or_b64 exec, exec, s[8:9]
	s_and_b64 vcc, exec, s[14:15]
	s_cbranch_vccz .LBB36_19
; %bb.13:                               ;   in Loop: Header=BB36_8 Depth=1
	v_cmp_ne_u32_e32 vcc, 63, v17
	s_nop 1
	v_addc_co_u32_e32 v8, vcc, 0, v16, vcc
	v_lshlrev_b32_e32 v9, 2, v8
	ds_bpermute_b32 v8, v9, v6
	ds_bpermute_b32 v9, v9, v7
	v_cmp_gt_u32_e32 vcc, 62, v17
	s_waitcnt lgkmcnt(0)
	v_add_f64 v[8:9], v[6:7], v[8:9]
	v_cndmask_b32_e64 v10, 0, 2, vcc
	v_add_lshl_u32 v11, v10, v16, 2
	ds_bpermute_b32 v10, v11, v8
	ds_bpermute_b32 v11, v11, v9
	v_cmp_gt_u32_e32 vcc, 60, v17
	s_waitcnt lgkmcnt(0)
	v_add_f64 v[8:9], v[8:9], v[10:11]
	v_cndmask_b32_e64 v10, 0, 4, vcc
	v_add_lshl_u32 v11, v10, v16, 2
	;; [unrolled: 7-line block ×4, first 2 shown]
	ds_bpermute_b32 v10, v11, v8
	ds_bpermute_b32 v11, v11, v9
	s_waitcnt lgkmcnt(0)
	v_add_f64 v[8:9], v[8:9], v[10:11]
	ds_bpermute_b32 v10, v18, v8
	ds_bpermute_b32 v11, v18, v9
	s_waitcnt lgkmcnt(0)
	v_add_f64 v[10:11], v[8:9], v[10:11]
	s_and_saveexec_b64 s[8:9], s[4:5]
; %bb.14:                               ;   in Loop: Header=BB36_8 Depth=1
	ds_write_b64 v13, v[10:11] offset:16384
; %bb.15:                               ;   in Loop: Header=BB36_8 Depth=1
	s_or_b64 exec, exec, s[8:9]
	s_mov_b64 s[22:23], 0
	s_mov_b64 s[8:9], 0
	s_waitcnt lgkmcnt(0)
	s_barrier
                                        ; implicit-def: $vgpr8_vgpr9
	s_and_saveexec_b64 s[26:27], s[6:7]
	s_xor_b64 s[26:27], exec, s[26:27]
	s_cbranch_execz .LBB36_17
; %bb.16:                               ;   in Loop: Header=BB36_8 Depth=1
	ds_read_b64 v[8:9], v15 offset:16392
	s_mov_b64 s[8:9], exec
	s_waitcnt lgkmcnt(0)
	v_add_f64 v[8:9], v[10:11], v[8:9]
.LBB36_17:                              ;   in Loop: Header=BB36_8 Depth=1
	s_or_b64 exec, exec, s[26:27]
	s_and_b64 vcc, exec, s[22:23]
	s_cbranch_vccnz .LBB36_20
.LBB36_18:                              ;   in Loop: Header=BB36_8 Depth=1
	v_mov_b64_e32 v[6:7], v[8:9]
	s_and_saveexec_b64 s[22:23], s[8:9]
	s_cbranch_execnz .LBB36_21
	s_branch .LBB36_22
.LBB36_19:                              ;   in Loop: Header=BB36_8 Depth=1
	s_mov_b64 s[8:9], 0
                                        ; implicit-def: $vgpr8_vgpr9
	s_cbranch_execz .LBB36_18
.LBB36_20:                              ;   in Loop: Header=BB36_8 Depth=1
	s_andn2_b64 s[8:9], s[8:9], exec
	s_and_b64 s[22:23], s[6:7], exec
	s_or_b64 s[8:9], s[8:9], s[22:23]
	s_and_saveexec_b64 s[22:23], s[8:9]
.LBB36_21:                              ;   in Loop: Header=BB36_8 Depth=1
	ds_write_b64 v15, v[6:7] offset:16384
.LBB36_22:                              ;   in Loop: Header=BB36_8 Depth=1
	s_or_b64 exec, exec, s[22:23]
	s_waitcnt lgkmcnt(0)
	s_barrier
	s_and_saveexec_b64 s[8:9], s[0:1]
	s_cbranch_execz .LBB36_7
; %bb.23:                               ;   in Loop: Header=BB36_8 Depth=1
	global_load_dwordx2 v[8:9], v15, s[12:13]
	ds_read_b64 v[10:11], v15 offset:16384
	s_mov_b64 s[22:23], 0
	v_mov_b32_e32 v19, v12
	v_mov_b64_e32 v[6:7], v[2:3]
	s_waitcnt vmcnt(0) lgkmcnt(0)
	v_mul_f64 v[8:9], v[10:11], -v[8:9]
	v_mov_b64_e32 v[10:11], v[0:1]
.LBB36_24:                              ;   Parent Loop BB36_8 Depth=1
                                        ; =>  This Inner Loop Header: Depth=2
	flat_load_dwordx2 v[20:21], v[6:7]
	ds_read_b64 v[22:23], v19
	v_lshl_add_u64 v[10:11], v[10:11], 0, s[18:19]
	v_cmp_le_i64_e32 vcc, s[10:11], v[10:11]
	s_or_b64 s[22:23], vcc, s[22:23]
	v_add_u32_e32 v19, 0x400, v19
	s_waitcnt vmcnt(0) lgkmcnt(0)
	v_fmac_f64_e32 v[20:21], v[8:9], v[22:23]
	flat_store_dwordx2 v[6:7], v[20:21]
	v_lshl_add_u64 v[6:7], v[6:7], 0, s[16:17]
	s_andn2_b64 exec, exec, s[22:23]
	s_cbranch_execnz .LBB36_24
	s_branch .LBB36_7
.LBB36_25:
	s_endpgm
	.section	.rodata,"a",@progbits
	.p2align	6, 0x0
	.amdhsa_kernel _ZN9rocsolver6v33100L23larf_right_kernel_smallILi128EdlPKPdEEvT1_S5_T2_lS5_lPKT0_lS6_lS5_l
		.amdhsa_group_segment_fixed_size 16400
		.amdhsa_private_segment_fixed_size 0
		.amdhsa_kernarg_size 96
		.amdhsa_user_sgpr_count 2
		.amdhsa_user_sgpr_dispatch_ptr 0
		.amdhsa_user_sgpr_queue_ptr 0
		.amdhsa_user_sgpr_kernarg_segment_ptr 1
		.amdhsa_user_sgpr_dispatch_id 0
		.amdhsa_user_sgpr_kernarg_preload_length 0
		.amdhsa_user_sgpr_kernarg_preload_offset 0
		.amdhsa_user_sgpr_private_segment_size 0
		.amdhsa_uses_dynamic_stack 0
		.amdhsa_enable_private_segment 0
		.amdhsa_system_sgpr_workgroup_id_x 1
		.amdhsa_system_sgpr_workgroup_id_y 1
		.amdhsa_system_sgpr_workgroup_id_z 0
		.amdhsa_system_sgpr_workgroup_info 0
		.amdhsa_system_vgpr_workitem_id 0
		.amdhsa_next_free_vgpr 81
		.amdhsa_next_free_sgpr 96
		.amdhsa_accum_offset 24
		.amdhsa_reserve_vcc 1
		.amdhsa_float_round_mode_32 0
		.amdhsa_float_round_mode_16_64 0
		.amdhsa_float_denorm_mode_32 3
		.amdhsa_float_denorm_mode_16_64 3
		.amdhsa_dx10_clamp 1
		.amdhsa_ieee_mode 1
		.amdhsa_fp16_overflow 0
		.amdhsa_tg_split 0
		.amdhsa_exception_fp_ieee_invalid_op 0
		.amdhsa_exception_fp_denorm_src 0
		.amdhsa_exception_fp_ieee_div_zero 0
		.amdhsa_exception_fp_ieee_overflow 0
		.amdhsa_exception_fp_ieee_underflow 0
		.amdhsa_exception_fp_ieee_inexact 0
		.amdhsa_exception_int_div_zero 0
	.end_amdhsa_kernel
	.section	.text._ZN9rocsolver6v33100L23larf_right_kernel_smallILi128EdlPKPdEEvT1_S5_T2_lS5_lPKT0_lS6_lS5_l,"axG",@progbits,_ZN9rocsolver6v33100L23larf_right_kernel_smallILi128EdlPKPdEEvT1_S5_T2_lS5_lPKT0_lS6_lS5_l,comdat
.Lfunc_end36:
	.size	_ZN9rocsolver6v33100L23larf_right_kernel_smallILi128EdlPKPdEEvT1_S5_T2_lS5_lPKT0_lS6_lS5_l, .Lfunc_end36-_ZN9rocsolver6v33100L23larf_right_kernel_smallILi128EdlPKPdEEvT1_S5_T2_lS5_lPKT0_lS6_lS5_l
                                        ; -- End function
	.set _ZN9rocsolver6v33100L23larf_right_kernel_smallILi128EdlPKPdEEvT1_S5_T2_lS5_lPKT0_lS6_lS5_l.num_vgpr, 24
	.set _ZN9rocsolver6v33100L23larf_right_kernel_smallILi128EdlPKPdEEvT1_S5_T2_lS5_lPKT0_lS6_lS5_l.num_agpr, 0
	.set _ZN9rocsolver6v33100L23larf_right_kernel_smallILi128EdlPKPdEEvT1_S5_T2_lS5_lPKT0_lS6_lS5_l.numbered_sgpr, 32
	.set _ZN9rocsolver6v33100L23larf_right_kernel_smallILi128EdlPKPdEEvT1_S5_T2_lS5_lPKT0_lS6_lS5_l.num_named_barrier, 0
	.set _ZN9rocsolver6v33100L23larf_right_kernel_smallILi128EdlPKPdEEvT1_S5_T2_lS5_lPKT0_lS6_lS5_l.private_seg_size, 0
	.set _ZN9rocsolver6v33100L23larf_right_kernel_smallILi128EdlPKPdEEvT1_S5_T2_lS5_lPKT0_lS6_lS5_l.uses_vcc, 1
	.set _ZN9rocsolver6v33100L23larf_right_kernel_smallILi128EdlPKPdEEvT1_S5_T2_lS5_lPKT0_lS6_lS5_l.uses_flat_scratch, 0
	.set _ZN9rocsolver6v33100L23larf_right_kernel_smallILi128EdlPKPdEEvT1_S5_T2_lS5_lPKT0_lS6_lS5_l.has_dyn_sized_stack, 0
	.set _ZN9rocsolver6v33100L23larf_right_kernel_smallILi128EdlPKPdEEvT1_S5_T2_lS5_lPKT0_lS6_lS5_l.has_recursion, 0
	.set _ZN9rocsolver6v33100L23larf_right_kernel_smallILi128EdlPKPdEEvT1_S5_T2_lS5_lPKT0_lS6_lS5_l.has_indirect_call, 0
	.section	.AMDGPU.csdata,"",@progbits
; Kernel info:
; codeLenInByte = 1236
; TotalNumSgprs: 38
; NumVgprs: 24
; NumAgprs: 0
; TotalNumVgprs: 24
; ScratchSize: 0
; MemoryBound: 0
; FloatMode: 240
; IeeeMode: 1
; LDSByteSize: 16400 bytes/workgroup (compile time only)
; SGPRBlocks: 12
; VGPRBlocks: 10
; NumSGPRsForWavesPerEU: 102
; NumVGPRsForWavesPerEU: 81
; AccumOffset: 24
; Occupancy: 5
; WaveLimiterHint : 1
; COMPUTE_PGM_RSRC2:SCRATCH_EN: 0
; COMPUTE_PGM_RSRC2:USER_SGPR: 2
; COMPUTE_PGM_RSRC2:TRAP_HANDLER: 0
; COMPUTE_PGM_RSRC2:TGID_X_EN: 1
; COMPUTE_PGM_RSRC2:TGID_Y_EN: 1
; COMPUTE_PGM_RSRC2:TGID_Z_EN: 0
; COMPUTE_PGM_RSRC2:TIDIG_COMP_CNT: 0
; COMPUTE_PGM_RSRC3_GFX90A:ACCUM_OFFSET: 5
; COMPUTE_PGM_RSRC3_GFX90A:TG_SPLIT: 0
	.section	.text._ZN9rocsolver6v33100L23larf_right_kernel_smallILi256EdlPKPdEEvT1_S5_T2_lS5_lPKT0_lS6_lS5_l,"axG",@progbits,_ZN9rocsolver6v33100L23larf_right_kernel_smallILi256EdlPKPdEEvT1_S5_T2_lS5_lPKT0_lS6_lS5_l,comdat
	.globl	_ZN9rocsolver6v33100L23larf_right_kernel_smallILi256EdlPKPdEEvT1_S5_T2_lS5_lPKT0_lS6_lS5_l ; -- Begin function _ZN9rocsolver6v33100L23larf_right_kernel_smallILi256EdlPKPdEEvT1_S5_T2_lS5_lPKT0_lS6_lS5_l
	.p2align	8
	.type	_ZN9rocsolver6v33100L23larf_right_kernel_smallILi256EdlPKPdEEvT1_S5_T2_lS5_lPKT0_lS6_lS5_l,@function
_ZN9rocsolver6v33100L23larf_right_kernel_smallILi256EdlPKPdEEvT1_S5_T2_lS5_lPKT0_lS6_lS5_l: ; @_ZN9rocsolver6v33100L23larf_right_kernel_smallILi256EdlPKPdEEvT1_S5_T2_lS5_lPKT0_lS6_lS5_l
; %bb.0:
	s_mov_b32 s24, s3
	s_load_dwordx8 s[8:15], s[0:1], 0x0
	s_load_dwordx2 s[4:5], s[0:1], 0x20
	s_load_dwordx8 s[16:23], s[0:1], 0x30
	s_load_dwordx2 s[26:27], s[0:1], 0x50
	s_mov_b32 s3, 0
	s_lshl_b64 s[0:1], s[2:3], 3
	s_waitcnt lgkmcnt(0)
	s_add_u32 s12, s12, s0
	s_addc_u32 s13, s13, s1
	s_add_u32 s0, s20, s0
	v_cmp_gt_i64_e64 s[6:7], s[4:5], 0
	s_addc_u32 s1, s21, s1
	s_mov_b64 s[28:29], 0
	s_and_b64 vcc, exec, s[6:7]
	s_cbranch_vccnz .LBB37_2
; %bb.1:
	s_sub_u32 s3, 1, s10
	s_subb_u32 s6, 0, s11
	s_mul_i32 s6, s4, s6
	s_mul_hi_u32 s7, s4, s3
	s_add_i32 s6, s7, s6
	s_mul_i32 s7, s5, s3
	s_add_i32 s29, s6, s7
	s_mul_i32 s28, s4, s3
.LBB37_2:
	s_load_dwordx2 s[20:21], s[0:1], 0x0
	v_mov_b32_e32 v1, 0
	v_cmp_gt_i64_e64 s[0:1], s[10:11], v[0:1]
	v_lshlrev_b32_e32 v12, 3, v0
	s_and_saveexec_b64 s[6:7], s[0:1]
	s_cbranch_execz .LBB37_5
; %bb.3:
	s_load_dwordx2 s[12:13], s[12:13], 0x0
	s_lshl_b64 s[28:29], s[28:29], 3
	s_lshl_b64 s[14:15], s[14:15], 3
	v_mad_u64_u32 v[2:3], s[30:31], s4, v0, 0
	s_waitcnt lgkmcnt(0)
	s_add_u32 s3, s12, s14
	v_mov_b32_e32 v4, v3
	s_addc_u32 s13, s13, s15
	v_mad_u64_u32 v[4:5], s[30:31], s5, v0, v[4:5]
	s_add_u32 s12, s3, s28
	v_mov_b32_e32 v3, v4
	s_addc_u32 s13, s13, s29
	v_lshl_add_u64 v[2:3], v[2:3], 3, s[12:13]
	s_lshl_b64 s[4:5], s[4:5], 11
	v_lshlrev_b32_e32 v6, 3, v0
	s_mov_b64 s[12:13], 0
	s_mov_b64 s[14:15], 0x100
	v_mov_b64_e32 v[4:5], v[0:1]
.LBB37_4:                               ; =>This Inner Loop Header: Depth=1
	flat_load_dwordx2 v[8:9], v[2:3]
	v_lshl_add_u64 v[4:5], v[4:5], 0, s[14:15]
	v_cmp_le_i64_e32 vcc, s[10:11], v[4:5]
	v_lshl_add_u64 v[2:3], v[2:3], 0, s[4:5]
	s_or_b64 s[12:13], vcc, s[12:13]
	s_waitcnt vmcnt(0) lgkmcnt(0)
	ds_write_b64 v6, v[8:9]
	v_add_u32_e32 v6, 0x800, v6
	s_andn2_b64 exec, exec, s[12:13]
	s_cbranch_execnz .LBB37_4
.LBB37_5:
	s_or_b64 exec, exec, s[6:7]
	s_mov_b32 s25, 0
	v_mov_b64_e32 v[2:3], s[24:25]
	v_cmp_le_i64_e32 vcc, s[8:9], v[2:3]
	s_waitcnt lgkmcnt(0)
	s_barrier
	s_cbranch_vccnz .LBB37_25
; %bb.6:
	s_lshl_b64 s[22:23], s[22:23], 3
	s_add_u32 s28, s20, s22
	s_mul_i32 s3, s19, s2
	s_mul_hi_u32 s4, s18, s2
	s_addc_u32 s29, s21, s23
	s_add_i32 s3, s4, s3
	s_mul_i32 s2, s18, s2
	s_lshl_b64 s[2:3], s[2:3], 3
	s_add_u32 s12, s16, s2
	v_and_b32_e32 v2, 63, v0
	s_addc_u32 s13, s17, s3
	v_cmp_eq_u32_e64 s[4:5], 0, v2
	v_mad_u64_u32 v[2:3], s[16:17], s26, v0, 0
	v_mov_b32_e32 v4, v3
	s_cmp_gt_i32 s10, 1
	v_mad_u64_u32 v[4:5], s[16:17], s27, v0, v[4:5]
	s_cselect_b64 s[14:15], -1, 0
	s_lshl_b32 s30, s26, 8
	s_lshl_b64 s[16:17], s[24:25], 3
	s_add_u32 s16, s20, s16
	s_addc_u32 s17, s21, s17
	s_add_u32 s16, s16, s22
	v_mbcnt_lo_u32_b32 v6, -1, 0
	v_mov_b32_e32 v3, v4
	s_addc_u32 s17, s17, s23
	v_mbcnt_hi_u32_b32 v17, -1, v6
	v_mov_b32_e32 v6, 0x80
	v_cmp_gt_i32_e64 s[2:3], s10, v0
	v_lshrrev_b32_e32 v13, 3, v0
	v_cmp_eq_u32_e64 s[6:7], 0, v0
	v_mul_lo_u32 v14, v0, s26
	v_lshl_add_u64 v[2:3], v[2:3], 3, s[16:17]
	s_lshl_b64 s[16:17], s[26:27], 11
	v_mov_b32_e32 v15, 0x4008
	v_mov_b32_e32 v16, 0
	s_mov_b64 s[18:19], 0x100
	s_mov_b64 s[20:21], 0x200
	v_mov_b64_e32 v[4:5], s[8:9]
	v_and_b32_e32 v18, 63, v17
	v_lshl_or_b32 v19, v17, 2, v6
	s_branch .LBB37_8
.LBB37_7:                               ;   in Loop: Header=BB37_8 Depth=1
	s_or_b64 exec, exec, s[8:9]
	s_add_u32 s24, s24, 64
	s_addc_u32 s25, s25, 0
	v_cmp_ge_i64_e32 vcc, s[24:25], v[4:5]
	v_lshl_add_u64 v[2:3], v[2:3], 0, s[20:21]
	s_cbranch_vccnz .LBB37_25
.LBB37_8:                               ; =>This Loop Header: Depth=1
                                        ;     Child Loop BB37_10 Depth 2
                                        ;     Child Loop BB37_24 Depth 2
	v_mov_b64_e32 v[6:7], 0
	s_and_saveexec_b64 s[8:9], s[2:3]
	s_cbranch_execz .LBB37_12
; %bb.9:                                ;   in Loop: Header=BB37_8 Depth=1
	s_lshl_b64 s[22:23], s[24:25], 3
	s_add_u32 s22, s28, s22
	s_addc_u32 s23, s29, s23
	v_mov_b64_e32 v[6:7], 0
	s_mov_b64 s[26:27], 0
	v_mov_b32_e32 v8, v14
	v_mov_b32_e32 v10, v12
	;; [unrolled: 1-line block ×3, first 2 shown]
.LBB37_10:                              ;   Parent Loop BB37_8 Depth=1
                                        ; =>  This Inner Loop Header: Depth=2
	v_ashrrev_i32_e32 v9, 31, v8
	v_lshl_add_u64 v[20:21], v[8:9], 3, s[22:23]
	flat_load_dwordx2 v[20:21], v[20:21]
	ds_read_b64 v[22:23], v10
	v_add_u32_e32 v11, 0x100, v11
	v_cmp_le_i32_e32 vcc, s10, v11
	v_add_u32_e32 v10, 0x800, v10
	v_add_u32_e32 v8, s30, v8
	s_or_b64 s[26:27], vcc, s[26:27]
	s_waitcnt vmcnt(0) lgkmcnt(0)
	v_fmac_f64_e32 v[6:7], v[22:23], v[20:21]
	s_andn2_b64 exec, exec, s[26:27]
	s_cbranch_execnz .LBB37_10
; %bb.11:                               ;   in Loop: Header=BB37_8 Depth=1
	s_or_b64 exec, exec, s[26:27]
.LBB37_12:                              ;   in Loop: Header=BB37_8 Depth=1
	s_or_b64 exec, exec, s[8:9]
	s_and_b64 vcc, exec, s[14:15]
	s_cbranch_vccz .LBB37_19
; %bb.13:                               ;   in Loop: Header=BB37_8 Depth=1
	v_cmp_ne_u32_e32 vcc, 63, v18
	s_nop 1
	v_addc_co_u32_e32 v8, vcc, 0, v17, vcc
	v_lshlrev_b32_e32 v9, 2, v8
	ds_bpermute_b32 v8, v9, v6
	ds_bpermute_b32 v9, v9, v7
	v_cmp_gt_u32_e32 vcc, 62, v18
	s_waitcnt lgkmcnt(0)
	v_add_f64 v[8:9], v[6:7], v[8:9]
	v_cndmask_b32_e64 v10, 0, 2, vcc
	v_add_lshl_u32 v11, v10, v17, 2
	ds_bpermute_b32 v10, v11, v8
	ds_bpermute_b32 v11, v11, v9
	v_cmp_gt_u32_e32 vcc, 60, v18
	s_waitcnt lgkmcnt(0)
	v_add_f64 v[8:9], v[8:9], v[10:11]
	v_cndmask_b32_e64 v10, 0, 4, vcc
	v_add_lshl_u32 v11, v10, v17, 2
	;; [unrolled: 7-line block ×4, first 2 shown]
	ds_bpermute_b32 v10, v11, v8
	ds_bpermute_b32 v11, v11, v9
	s_waitcnt lgkmcnt(0)
	v_add_f64 v[8:9], v[8:9], v[10:11]
	ds_bpermute_b32 v10, v19, v8
	ds_bpermute_b32 v11, v19, v9
	s_waitcnt lgkmcnt(0)
	v_add_f64 v[8:9], v[8:9], v[10:11]
	s_and_saveexec_b64 s[8:9], s[4:5]
; %bb.14:                               ;   in Loop: Header=BB37_8 Depth=1
	ds_write_b64 v13, v[8:9] offset:16384
; %bb.15:                               ;   in Loop: Header=BB37_8 Depth=1
	s_or_b64 exec, exec, s[8:9]
	s_mov_b64 s[22:23], 0
	s_mov_b64 s[8:9], 0
	s_waitcnt lgkmcnt(0)
	s_barrier
                                        ; implicit-def: $vgpr10_vgpr11
	s_and_saveexec_b64 s[26:27], s[6:7]
	s_xor_b64 s[26:27], exec, s[26:27]
	s_cbranch_execz .LBB37_17
; %bb.16:                               ;   in Loop: Header=BB37_8 Depth=1
	ds_read2_b64 v[20:23], v15 offset1:1
	ds_read_b64 v[10:11], v16 offset:16408
	s_mov_b64 s[8:9], exec
	s_waitcnt lgkmcnt(0)
	v_add_f64 v[8:9], v[8:9], v[20:21]
	v_add_f64 v[8:9], v[8:9], v[22:23]
	s_waitcnt lgkmcnt(0)
	v_add_f64 v[10:11], v[8:9], v[10:11]
.LBB37_17:                              ;   in Loop: Header=BB37_8 Depth=1
	s_or_b64 exec, exec, s[26:27]
	s_and_b64 vcc, exec, s[22:23]
	s_cbranch_vccnz .LBB37_20
.LBB37_18:                              ;   in Loop: Header=BB37_8 Depth=1
	v_mov_b64_e32 v[6:7], v[10:11]
	s_and_saveexec_b64 s[22:23], s[8:9]
	s_cbranch_execnz .LBB37_21
	s_branch .LBB37_22
.LBB37_19:                              ;   in Loop: Header=BB37_8 Depth=1
	s_mov_b64 s[8:9], 0
                                        ; implicit-def: $vgpr10_vgpr11
	s_cbranch_execz .LBB37_18
.LBB37_20:                              ;   in Loop: Header=BB37_8 Depth=1
	s_andn2_b64 s[8:9], s[8:9], exec
	s_and_b64 s[22:23], s[6:7], exec
	s_or_b64 s[8:9], s[8:9], s[22:23]
	s_and_saveexec_b64 s[22:23], s[8:9]
.LBB37_21:                              ;   in Loop: Header=BB37_8 Depth=1
	ds_write_b64 v16, v[6:7] offset:16384
.LBB37_22:                              ;   in Loop: Header=BB37_8 Depth=1
	s_or_b64 exec, exec, s[22:23]
	s_waitcnt lgkmcnt(0)
	s_barrier
	s_and_saveexec_b64 s[8:9], s[0:1]
	s_cbranch_execz .LBB37_7
; %bb.23:                               ;   in Loop: Header=BB37_8 Depth=1
	global_load_dwordx2 v[8:9], v16, s[12:13]
	ds_read_b64 v[10:11], v16 offset:16384
	s_mov_b64 s[22:23], 0
	v_mov_b32_e32 v20, v12
	v_mov_b64_e32 v[6:7], v[2:3]
	s_waitcnt vmcnt(0) lgkmcnt(0)
	v_mul_f64 v[8:9], v[10:11], -v[8:9]
	v_mov_b64_e32 v[10:11], v[0:1]
.LBB37_24:                              ;   Parent Loop BB37_8 Depth=1
                                        ; =>  This Inner Loop Header: Depth=2
	flat_load_dwordx2 v[22:23], v[6:7]
	ds_read_b64 v[24:25], v20
	v_lshl_add_u64 v[10:11], v[10:11], 0, s[18:19]
	v_cmp_le_i64_e32 vcc, s[10:11], v[10:11]
	s_or_b64 s[22:23], vcc, s[22:23]
	v_add_u32_e32 v20, 0x800, v20
	s_waitcnt vmcnt(0) lgkmcnt(0)
	v_fmac_f64_e32 v[22:23], v[8:9], v[24:25]
	flat_store_dwordx2 v[6:7], v[22:23]
	v_lshl_add_u64 v[6:7], v[6:7], 0, s[16:17]
	s_andn2_b64 exec, exec, s[22:23]
	s_cbranch_execnz .LBB37_24
	s_branch .LBB37_7
.LBB37_25:
	s_endpgm
	.section	.rodata,"a",@progbits
	.p2align	6, 0x0
	.amdhsa_kernel _ZN9rocsolver6v33100L23larf_right_kernel_smallILi256EdlPKPdEEvT1_S5_T2_lS5_lPKT0_lS6_lS5_l
		.amdhsa_group_segment_fixed_size 16416
		.amdhsa_private_segment_fixed_size 0
		.amdhsa_kernarg_size 96
		.amdhsa_user_sgpr_count 2
		.amdhsa_user_sgpr_dispatch_ptr 0
		.amdhsa_user_sgpr_queue_ptr 0
		.amdhsa_user_sgpr_kernarg_segment_ptr 1
		.amdhsa_user_sgpr_dispatch_id 0
		.amdhsa_user_sgpr_kernarg_preload_length 0
		.amdhsa_user_sgpr_kernarg_preload_offset 0
		.amdhsa_user_sgpr_private_segment_size 0
		.amdhsa_uses_dynamic_stack 0
		.amdhsa_enable_private_segment 0
		.amdhsa_system_sgpr_workgroup_id_x 1
		.amdhsa_system_sgpr_workgroup_id_y 1
		.amdhsa_system_sgpr_workgroup_id_z 0
		.amdhsa_system_sgpr_workgroup_info 0
		.amdhsa_system_vgpr_workitem_id 0
		.amdhsa_next_free_vgpr 26
		.amdhsa_next_free_sgpr 32
		.amdhsa_accum_offset 28
		.amdhsa_reserve_vcc 1
		.amdhsa_float_round_mode_32 0
		.amdhsa_float_round_mode_16_64 0
		.amdhsa_float_denorm_mode_32 3
		.amdhsa_float_denorm_mode_16_64 3
		.amdhsa_dx10_clamp 1
		.amdhsa_ieee_mode 1
		.amdhsa_fp16_overflow 0
		.amdhsa_tg_split 0
		.amdhsa_exception_fp_ieee_invalid_op 0
		.amdhsa_exception_fp_denorm_src 0
		.amdhsa_exception_fp_ieee_div_zero 0
		.amdhsa_exception_fp_ieee_overflow 0
		.amdhsa_exception_fp_ieee_underflow 0
		.amdhsa_exception_fp_ieee_inexact 0
		.amdhsa_exception_int_div_zero 0
	.end_amdhsa_kernel
	.section	.text._ZN9rocsolver6v33100L23larf_right_kernel_smallILi256EdlPKPdEEvT1_S5_T2_lS5_lPKT0_lS6_lS5_l,"axG",@progbits,_ZN9rocsolver6v33100L23larf_right_kernel_smallILi256EdlPKPdEEvT1_S5_T2_lS5_lPKT0_lS6_lS5_l,comdat
.Lfunc_end37:
	.size	_ZN9rocsolver6v33100L23larf_right_kernel_smallILi256EdlPKPdEEvT1_S5_T2_lS5_lPKT0_lS6_lS5_l, .Lfunc_end37-_ZN9rocsolver6v33100L23larf_right_kernel_smallILi256EdlPKPdEEvT1_S5_T2_lS5_lPKT0_lS6_lS5_l
                                        ; -- End function
	.set _ZN9rocsolver6v33100L23larf_right_kernel_smallILi256EdlPKPdEEvT1_S5_T2_lS5_lPKT0_lS6_lS5_l.num_vgpr, 26
	.set _ZN9rocsolver6v33100L23larf_right_kernel_smallILi256EdlPKPdEEvT1_S5_T2_lS5_lPKT0_lS6_lS5_l.num_agpr, 0
	.set _ZN9rocsolver6v33100L23larf_right_kernel_smallILi256EdlPKPdEEvT1_S5_T2_lS5_lPKT0_lS6_lS5_l.numbered_sgpr, 32
	.set _ZN9rocsolver6v33100L23larf_right_kernel_smallILi256EdlPKPdEEvT1_S5_T2_lS5_lPKT0_lS6_lS5_l.num_named_barrier, 0
	.set _ZN9rocsolver6v33100L23larf_right_kernel_smallILi256EdlPKPdEEvT1_S5_T2_lS5_lPKT0_lS6_lS5_l.private_seg_size, 0
	.set _ZN9rocsolver6v33100L23larf_right_kernel_smallILi256EdlPKPdEEvT1_S5_T2_lS5_lPKT0_lS6_lS5_l.uses_vcc, 1
	.set _ZN9rocsolver6v33100L23larf_right_kernel_smallILi256EdlPKPdEEvT1_S5_T2_lS5_lPKT0_lS6_lS5_l.uses_flat_scratch, 0
	.set _ZN9rocsolver6v33100L23larf_right_kernel_smallILi256EdlPKPdEEvT1_S5_T2_lS5_lPKT0_lS6_lS5_l.has_dyn_sized_stack, 0
	.set _ZN9rocsolver6v33100L23larf_right_kernel_smallILi256EdlPKPdEEvT1_S5_T2_lS5_lPKT0_lS6_lS5_l.has_recursion, 0
	.set _ZN9rocsolver6v33100L23larf_right_kernel_smallILi256EdlPKPdEEvT1_S5_T2_lS5_lPKT0_lS6_lS5_l.has_indirect_call, 0
	.section	.AMDGPU.csdata,"",@progbits
; Kernel info:
; codeLenInByte = 1272
; TotalNumSgprs: 38
; NumVgprs: 26
; NumAgprs: 0
; TotalNumVgprs: 26
; ScratchSize: 0
; MemoryBound: 0
; FloatMode: 240
; IeeeMode: 1
; LDSByteSize: 16416 bytes/workgroup (compile time only)
; SGPRBlocks: 4
; VGPRBlocks: 3
; NumSGPRsForWavesPerEU: 38
; NumVGPRsForWavesPerEU: 26
; AccumOffset: 28
; Occupancy: 8
; WaveLimiterHint : 1
; COMPUTE_PGM_RSRC2:SCRATCH_EN: 0
; COMPUTE_PGM_RSRC2:USER_SGPR: 2
; COMPUTE_PGM_RSRC2:TRAP_HANDLER: 0
; COMPUTE_PGM_RSRC2:TGID_X_EN: 1
; COMPUTE_PGM_RSRC2:TGID_Y_EN: 1
; COMPUTE_PGM_RSRC2:TGID_Z_EN: 0
; COMPUTE_PGM_RSRC2:TIDIG_COMP_CNT: 0
; COMPUTE_PGM_RSRC3_GFX90A:ACCUM_OFFSET: 6
; COMPUTE_PGM_RSRC3_GFX90A:TG_SPLIT: 0
	.section	.text._ZN9rocsolver6v33100L23larf_right_kernel_smallILi512EdlPKPdEEvT1_S5_T2_lS5_lPKT0_lS6_lS5_l,"axG",@progbits,_ZN9rocsolver6v33100L23larf_right_kernel_smallILi512EdlPKPdEEvT1_S5_T2_lS5_lPKT0_lS6_lS5_l,comdat
	.globl	_ZN9rocsolver6v33100L23larf_right_kernel_smallILi512EdlPKPdEEvT1_S5_T2_lS5_lPKT0_lS6_lS5_l ; -- Begin function _ZN9rocsolver6v33100L23larf_right_kernel_smallILi512EdlPKPdEEvT1_S5_T2_lS5_lPKT0_lS6_lS5_l
	.p2align	8
	.type	_ZN9rocsolver6v33100L23larf_right_kernel_smallILi512EdlPKPdEEvT1_S5_T2_lS5_lPKT0_lS6_lS5_l,@function
_ZN9rocsolver6v33100L23larf_right_kernel_smallILi512EdlPKPdEEvT1_S5_T2_lS5_lPKT0_lS6_lS5_l: ; @_ZN9rocsolver6v33100L23larf_right_kernel_smallILi512EdlPKPdEEvT1_S5_T2_lS5_lPKT0_lS6_lS5_l
; %bb.0:
	s_mov_b32 s24, s3
	s_load_dwordx8 s[8:15], s[0:1], 0x0
	s_load_dwordx2 s[4:5], s[0:1], 0x20
	s_load_dwordx8 s[16:23], s[0:1], 0x30
	s_load_dwordx2 s[26:27], s[0:1], 0x50
	s_mov_b32 s3, 0
	s_lshl_b64 s[0:1], s[2:3], 3
	s_waitcnt lgkmcnt(0)
	s_add_u32 s12, s12, s0
	s_addc_u32 s13, s13, s1
	s_add_u32 s0, s20, s0
	v_cmp_gt_i64_e64 s[6:7], s[4:5], 0
	s_addc_u32 s1, s21, s1
	s_mov_b64 s[28:29], 0
	s_and_b64 vcc, exec, s[6:7]
	s_cbranch_vccnz .LBB38_2
; %bb.1:
	s_sub_u32 s3, 1, s10
	s_subb_u32 s6, 0, s11
	s_mul_i32 s6, s4, s6
	s_mul_hi_u32 s7, s4, s3
	s_add_i32 s6, s7, s6
	s_mul_i32 s7, s5, s3
	s_add_i32 s29, s6, s7
	s_mul_i32 s28, s4, s3
.LBB38_2:
	s_load_dwordx2 s[20:21], s[0:1], 0x0
	v_mov_b32_e32 v1, 0
	v_cmp_gt_i64_e64 s[0:1], s[10:11], v[0:1]
	v_lshlrev_b32_e32 v12, 3, v0
	s_and_saveexec_b64 s[6:7], s[0:1]
	s_cbranch_execz .LBB38_5
; %bb.3:
	s_load_dwordx2 s[12:13], s[12:13], 0x0
	s_lshl_b64 s[28:29], s[28:29], 3
	s_lshl_b64 s[14:15], s[14:15], 3
	v_mad_u64_u32 v[2:3], s[30:31], s4, v0, 0
	s_waitcnt lgkmcnt(0)
	s_add_u32 s3, s12, s14
	v_mov_b32_e32 v4, v3
	s_addc_u32 s13, s13, s15
	v_mad_u64_u32 v[4:5], s[30:31], s5, v0, v[4:5]
	s_add_u32 s12, s3, s28
	v_mov_b32_e32 v3, v4
	s_addc_u32 s13, s13, s29
	v_lshl_add_u64 v[2:3], v[2:3], 3, s[12:13]
	s_lshl_b64 s[4:5], s[4:5], 12
	v_lshlrev_b32_e32 v6, 3, v0
	s_mov_b64 s[12:13], 0
	s_mov_b64 s[14:15], 0x200
	v_mov_b64_e32 v[4:5], v[0:1]
.LBB38_4:                               ; =>This Inner Loop Header: Depth=1
	flat_load_dwordx2 v[8:9], v[2:3]
	v_lshl_add_u64 v[4:5], v[4:5], 0, s[14:15]
	v_cmp_le_i64_e32 vcc, s[10:11], v[4:5]
	v_lshl_add_u64 v[2:3], v[2:3], 0, s[4:5]
	s_or_b64 s[12:13], vcc, s[12:13]
	s_waitcnt vmcnt(0) lgkmcnt(0)
	ds_write_b64 v6, v[8:9]
	v_add_u32_e32 v6, 0x1000, v6
	s_andn2_b64 exec, exec, s[12:13]
	s_cbranch_execnz .LBB38_4
.LBB38_5:
	s_or_b64 exec, exec, s[6:7]
	s_mov_b32 s25, 0
	v_mov_b64_e32 v[2:3], s[24:25]
	v_cmp_le_i64_e32 vcc, s[8:9], v[2:3]
	s_waitcnt lgkmcnt(0)
	s_barrier
	s_cbranch_vccnz .LBB38_25
; %bb.6:
	s_lshl_b64 s[22:23], s[22:23], 3
	s_add_u32 s28, s20, s22
	s_mul_i32 s3, s19, s2
	s_mul_hi_u32 s4, s18, s2
	s_addc_u32 s29, s21, s23
	s_add_i32 s3, s4, s3
	s_mul_i32 s2, s18, s2
	s_lshl_b64 s[2:3], s[2:3], 3
	s_add_u32 s12, s16, s2
	v_and_b32_e32 v2, 63, v0
	s_addc_u32 s13, s17, s3
	v_cmp_eq_u32_e64 s[4:5], 0, v2
	v_mad_u64_u32 v[2:3], s[16:17], s26, v0, 0
	v_mov_b32_e32 v4, v3
	s_cmp_gt_i32 s10, 1
	v_mad_u64_u32 v[4:5], s[16:17], s27, v0, v[4:5]
	s_cselect_b64 s[14:15], -1, 0
	s_lshl_b32 s30, s26, 9
	s_lshl_b64 s[16:17], s[24:25], 3
	s_add_u32 s16, s20, s16
	s_addc_u32 s17, s21, s17
	s_add_u32 s16, s16, s22
	v_mbcnt_lo_u32_b32 v6, -1, 0
	v_mov_b32_e32 v3, v4
	s_addc_u32 s17, s17, s23
	v_mbcnt_hi_u32_b32 v19, -1, v6
	v_mov_b32_e32 v6, 0x80
	v_cmp_gt_i32_e64 s[2:3], s10, v0
	v_lshrrev_b32_e32 v13, 3, v0
	v_cmp_eq_u32_e64 s[6:7], 0, v0
	v_mul_lo_u32 v14, v0, s26
	v_lshl_add_u64 v[2:3], v[2:3], 3, s[16:17]
	s_lshl_b64 s[16:17], s[26:27], 12
	v_mov_b32_e32 v15, 0x4008
	v_mov_b32_e32 v16, 0x4018
	;; [unrolled: 1-line block ×4, first 2 shown]
	s_mov_b64 s[18:19], 0x200
	v_mov_b64_e32 v[4:5], s[8:9]
	v_and_b32_e32 v20, 63, v19
	v_lshl_or_b32 v21, v19, 2, v6
	s_branch .LBB38_8
.LBB38_7:                               ;   in Loop: Header=BB38_8 Depth=1
	s_or_b64 exec, exec, s[8:9]
	s_add_u32 s24, s24, 64
	s_addc_u32 s25, s25, 0
	v_cmp_ge_i64_e32 vcc, s[24:25], v[4:5]
	v_lshl_add_u64 v[2:3], v[2:3], 0, s[18:19]
	s_cbranch_vccnz .LBB38_25
.LBB38_8:                               ; =>This Loop Header: Depth=1
                                        ;     Child Loop BB38_10 Depth 2
                                        ;     Child Loop BB38_24 Depth 2
	v_mov_b64_e32 v[6:7], 0
	s_and_saveexec_b64 s[8:9], s[2:3]
	s_cbranch_execz .LBB38_12
; %bb.9:                                ;   in Loop: Header=BB38_8 Depth=1
	s_lshl_b64 s[20:21], s[24:25], 3
	s_add_u32 s20, s28, s20
	s_addc_u32 s21, s29, s21
	v_mov_b64_e32 v[6:7], 0
	s_mov_b64 s[22:23], 0
	v_mov_b32_e32 v8, v14
	v_mov_b32_e32 v10, v12
	;; [unrolled: 1-line block ×3, first 2 shown]
.LBB38_10:                              ;   Parent Loop BB38_8 Depth=1
                                        ; =>  This Inner Loop Header: Depth=2
	v_ashrrev_i32_e32 v9, 31, v8
	v_lshl_add_u64 v[22:23], v[8:9], 3, s[20:21]
	flat_load_dwordx2 v[22:23], v[22:23]
	ds_read_b64 v[24:25], v10
	v_add_u32_e32 v11, 0x200, v11
	v_cmp_le_i32_e32 vcc, s10, v11
	v_add_u32_e32 v10, 0x1000, v10
	v_add_u32_e32 v8, s30, v8
	s_or_b64 s[22:23], vcc, s[22:23]
	s_waitcnt vmcnt(0) lgkmcnt(0)
	v_fmac_f64_e32 v[6:7], v[24:25], v[22:23]
	s_andn2_b64 exec, exec, s[22:23]
	s_cbranch_execnz .LBB38_10
; %bb.11:                               ;   in Loop: Header=BB38_8 Depth=1
	s_or_b64 exec, exec, s[22:23]
.LBB38_12:                              ;   in Loop: Header=BB38_8 Depth=1
	s_or_b64 exec, exec, s[8:9]
	s_and_b64 vcc, exec, s[14:15]
	s_cbranch_vccz .LBB38_19
; %bb.13:                               ;   in Loop: Header=BB38_8 Depth=1
	v_cmp_ne_u32_e32 vcc, 63, v20
	s_nop 1
	v_addc_co_u32_e32 v8, vcc, 0, v19, vcc
	v_lshlrev_b32_e32 v9, 2, v8
	ds_bpermute_b32 v8, v9, v6
	ds_bpermute_b32 v9, v9, v7
	v_cmp_gt_u32_e32 vcc, 62, v20
	s_waitcnt lgkmcnt(0)
	v_add_f64 v[8:9], v[6:7], v[8:9]
	v_cndmask_b32_e64 v10, 0, 2, vcc
	v_add_lshl_u32 v11, v10, v19, 2
	ds_bpermute_b32 v10, v11, v8
	ds_bpermute_b32 v11, v11, v9
	v_cmp_gt_u32_e32 vcc, 60, v20
	s_waitcnt lgkmcnt(0)
	v_add_f64 v[8:9], v[8:9], v[10:11]
	v_cndmask_b32_e64 v10, 0, 4, vcc
	v_add_lshl_u32 v11, v10, v19, 2
	;; [unrolled: 7-line block ×4, first 2 shown]
	ds_bpermute_b32 v10, v11, v8
	ds_bpermute_b32 v11, v11, v9
	s_waitcnt lgkmcnt(0)
	v_add_f64 v[8:9], v[8:9], v[10:11]
	ds_bpermute_b32 v10, v21, v8
	ds_bpermute_b32 v11, v21, v9
	s_waitcnt lgkmcnt(0)
	v_add_f64 v[8:9], v[8:9], v[10:11]
	s_and_saveexec_b64 s[8:9], s[4:5]
; %bb.14:                               ;   in Loop: Header=BB38_8 Depth=1
	ds_write_b64 v13, v[8:9] offset:16384
; %bb.15:                               ;   in Loop: Header=BB38_8 Depth=1
	s_or_b64 exec, exec, s[8:9]
	s_mov_b64 s[20:21], 0
	s_mov_b64 s[8:9], 0
	s_waitcnt lgkmcnt(0)
	s_barrier
                                        ; implicit-def: $vgpr10_vgpr11
	s_and_saveexec_b64 s[22:23], s[6:7]
	s_xor_b64 s[22:23], exec, s[22:23]
	s_cbranch_execz .LBB38_17
; %bb.16:                               ;   in Loop: Header=BB38_8 Depth=1
	ds_read2_b64 v[22:25], v15 offset1:1
	ds_read2_b64 v[26:29], v16 offset1:1
	;; [unrolled: 1-line block ×3, first 2 shown]
	ds_read_b64 v[10:11], v18 offset:16440
	s_mov_b64 s[8:9], exec
	s_waitcnt lgkmcnt(0)
	v_add_f64 v[8:9], v[8:9], v[22:23]
	v_add_f64 v[8:9], v[8:9], v[24:25]
	s_waitcnt lgkmcnt(2)
	v_add_f64 v[8:9], v[8:9], v[26:27]
	v_add_f64 v[8:9], v[8:9], v[28:29]
	;; [unrolled: 3-line block ×3, first 2 shown]
	s_waitcnt lgkmcnt(0)
	v_add_f64 v[10:11], v[8:9], v[10:11]
.LBB38_17:                              ;   in Loop: Header=BB38_8 Depth=1
	s_or_b64 exec, exec, s[22:23]
	s_and_b64 vcc, exec, s[20:21]
	s_cbranch_vccnz .LBB38_20
.LBB38_18:                              ;   in Loop: Header=BB38_8 Depth=1
	v_mov_b64_e32 v[6:7], v[10:11]
	s_and_saveexec_b64 s[20:21], s[8:9]
	s_cbranch_execnz .LBB38_21
	s_branch .LBB38_22
.LBB38_19:                              ;   in Loop: Header=BB38_8 Depth=1
	s_mov_b64 s[8:9], 0
                                        ; implicit-def: $vgpr10_vgpr11
	s_cbranch_execz .LBB38_18
.LBB38_20:                              ;   in Loop: Header=BB38_8 Depth=1
	s_andn2_b64 s[8:9], s[8:9], exec
	s_and_b64 s[20:21], s[6:7], exec
	s_or_b64 s[8:9], s[8:9], s[20:21]
	s_and_saveexec_b64 s[20:21], s[8:9]
.LBB38_21:                              ;   in Loop: Header=BB38_8 Depth=1
	ds_write_b64 v18, v[6:7] offset:16384
.LBB38_22:                              ;   in Loop: Header=BB38_8 Depth=1
	s_or_b64 exec, exec, s[20:21]
	s_waitcnt lgkmcnt(0)
	s_barrier
	s_and_saveexec_b64 s[8:9], s[0:1]
	s_cbranch_execz .LBB38_7
; %bb.23:                               ;   in Loop: Header=BB38_8 Depth=1
	global_load_dwordx2 v[8:9], v18, s[12:13]
	ds_read_b64 v[10:11], v18 offset:16384
	s_mov_b64 s[20:21], 0
	v_mov_b32_e32 v22, v12
	v_mov_b64_e32 v[6:7], v[2:3]
	s_waitcnt vmcnt(0) lgkmcnt(0)
	v_mul_f64 v[8:9], v[10:11], -v[8:9]
	v_mov_b64_e32 v[10:11], v[0:1]
.LBB38_24:                              ;   Parent Loop BB38_8 Depth=1
                                        ; =>  This Inner Loop Header: Depth=2
	flat_load_dwordx2 v[24:25], v[6:7]
	ds_read_b64 v[26:27], v22
	v_lshl_add_u64 v[10:11], v[10:11], 0, s[18:19]
	v_cmp_le_i64_e32 vcc, s[10:11], v[10:11]
	s_or_b64 s[20:21], vcc, s[20:21]
	v_add_u32_e32 v22, 0x1000, v22
	s_waitcnt vmcnt(0) lgkmcnt(0)
	v_fmac_f64_e32 v[24:25], v[8:9], v[26:27]
	flat_store_dwordx2 v[6:7], v[24:25]
	v_lshl_add_u64 v[6:7], v[6:7], 0, s[16:17]
	s_andn2_b64 exec, exec, s[20:21]
	s_cbranch_execnz .LBB38_24
	s_branch .LBB38_7
.LBB38_25:
	s_endpgm
	.section	.rodata,"a",@progbits
	.p2align	6, 0x0
	.amdhsa_kernel _ZN9rocsolver6v33100L23larf_right_kernel_smallILi512EdlPKPdEEvT1_S5_T2_lS5_lPKT0_lS6_lS5_l
		.amdhsa_group_segment_fixed_size 16448
		.amdhsa_private_segment_fixed_size 0
		.amdhsa_kernarg_size 96
		.amdhsa_user_sgpr_count 2
		.amdhsa_user_sgpr_dispatch_ptr 0
		.amdhsa_user_sgpr_queue_ptr 0
		.amdhsa_user_sgpr_kernarg_segment_ptr 1
		.amdhsa_user_sgpr_dispatch_id 0
		.amdhsa_user_sgpr_kernarg_preload_length 0
		.amdhsa_user_sgpr_kernarg_preload_offset 0
		.amdhsa_user_sgpr_private_segment_size 0
		.amdhsa_uses_dynamic_stack 0
		.amdhsa_enable_private_segment 0
		.amdhsa_system_sgpr_workgroup_id_x 1
		.amdhsa_system_sgpr_workgroup_id_y 1
		.amdhsa_system_sgpr_workgroup_id_z 0
		.amdhsa_system_sgpr_workgroup_info 0
		.amdhsa_system_vgpr_workitem_id 0
		.amdhsa_next_free_vgpr 34
		.amdhsa_next_free_sgpr 32
		.amdhsa_accum_offset 36
		.amdhsa_reserve_vcc 1
		.amdhsa_float_round_mode_32 0
		.amdhsa_float_round_mode_16_64 0
		.amdhsa_float_denorm_mode_32 3
		.amdhsa_float_denorm_mode_16_64 3
		.amdhsa_dx10_clamp 1
		.amdhsa_ieee_mode 1
		.amdhsa_fp16_overflow 0
		.amdhsa_tg_split 0
		.amdhsa_exception_fp_ieee_invalid_op 0
		.amdhsa_exception_fp_denorm_src 0
		.amdhsa_exception_fp_ieee_div_zero 0
		.amdhsa_exception_fp_ieee_overflow 0
		.amdhsa_exception_fp_ieee_underflow 0
		.amdhsa_exception_fp_ieee_inexact 0
		.amdhsa_exception_int_div_zero 0
	.end_amdhsa_kernel
	.section	.text._ZN9rocsolver6v33100L23larf_right_kernel_smallILi512EdlPKPdEEvT1_S5_T2_lS5_lPKT0_lS6_lS5_l,"axG",@progbits,_ZN9rocsolver6v33100L23larf_right_kernel_smallILi512EdlPKPdEEvT1_S5_T2_lS5_lPKT0_lS6_lS5_l,comdat
.Lfunc_end38:
	.size	_ZN9rocsolver6v33100L23larf_right_kernel_smallILi512EdlPKPdEEvT1_S5_T2_lS5_lPKT0_lS6_lS5_l, .Lfunc_end38-_ZN9rocsolver6v33100L23larf_right_kernel_smallILi512EdlPKPdEEvT1_S5_T2_lS5_lPKT0_lS6_lS5_l
                                        ; -- End function
	.set _ZN9rocsolver6v33100L23larf_right_kernel_smallILi512EdlPKPdEEvT1_S5_T2_lS5_lPKT0_lS6_lS5_l.num_vgpr, 34
	.set _ZN9rocsolver6v33100L23larf_right_kernel_smallILi512EdlPKPdEEvT1_S5_T2_lS5_lPKT0_lS6_lS5_l.num_agpr, 0
	.set _ZN9rocsolver6v33100L23larf_right_kernel_smallILi512EdlPKPdEEvT1_S5_T2_lS5_lPKT0_lS6_lS5_l.numbered_sgpr, 32
	.set _ZN9rocsolver6v33100L23larf_right_kernel_smallILi512EdlPKPdEEvT1_S5_T2_lS5_lPKT0_lS6_lS5_l.num_named_barrier, 0
	.set _ZN9rocsolver6v33100L23larf_right_kernel_smallILi512EdlPKPdEEvT1_S5_T2_lS5_lPKT0_lS6_lS5_l.private_seg_size, 0
	.set _ZN9rocsolver6v33100L23larf_right_kernel_smallILi512EdlPKPdEEvT1_S5_T2_lS5_lPKT0_lS6_lS5_l.uses_vcc, 1
	.set _ZN9rocsolver6v33100L23larf_right_kernel_smallILi512EdlPKPdEEvT1_S5_T2_lS5_lPKT0_lS6_lS5_l.uses_flat_scratch, 0
	.set _ZN9rocsolver6v33100L23larf_right_kernel_smallILi512EdlPKPdEEvT1_S5_T2_lS5_lPKT0_lS6_lS5_l.has_dyn_sized_stack, 0
	.set _ZN9rocsolver6v33100L23larf_right_kernel_smallILi512EdlPKPdEEvT1_S5_T2_lS5_lPKT0_lS6_lS5_l.has_recursion, 0
	.set _ZN9rocsolver6v33100L23larf_right_kernel_smallILi512EdlPKPdEEvT1_S5_T2_lS5_lPKT0_lS6_lS5_l.has_indirect_call, 0
	.section	.AMDGPU.csdata,"",@progbits
; Kernel info:
; codeLenInByte = 1336
; TotalNumSgprs: 38
; NumVgprs: 34
; NumAgprs: 0
; TotalNumVgprs: 34
; ScratchSize: 0
; MemoryBound: 0
; FloatMode: 240
; IeeeMode: 1
; LDSByteSize: 16448 bytes/workgroup (compile time only)
; SGPRBlocks: 4
; VGPRBlocks: 4
; NumSGPRsForWavesPerEU: 38
; NumVGPRsForWavesPerEU: 34
; AccumOffset: 36
; Occupancy: 8
; WaveLimiterHint : 1
; COMPUTE_PGM_RSRC2:SCRATCH_EN: 0
; COMPUTE_PGM_RSRC2:USER_SGPR: 2
; COMPUTE_PGM_RSRC2:TRAP_HANDLER: 0
; COMPUTE_PGM_RSRC2:TGID_X_EN: 1
; COMPUTE_PGM_RSRC2:TGID_Y_EN: 1
; COMPUTE_PGM_RSRC2:TGID_Z_EN: 0
; COMPUTE_PGM_RSRC2:TIDIG_COMP_CNT: 0
; COMPUTE_PGM_RSRC3_GFX90A:ACCUM_OFFSET: 8
; COMPUTE_PGM_RSRC3_GFX90A:TG_SPLIT: 0
	.section	.text._ZN9rocsolver6v33100L23larf_right_kernel_smallILi1024EdlPKPdEEvT1_S5_T2_lS5_lPKT0_lS6_lS5_l,"axG",@progbits,_ZN9rocsolver6v33100L23larf_right_kernel_smallILi1024EdlPKPdEEvT1_S5_T2_lS5_lPKT0_lS6_lS5_l,comdat
	.globl	_ZN9rocsolver6v33100L23larf_right_kernel_smallILi1024EdlPKPdEEvT1_S5_T2_lS5_lPKT0_lS6_lS5_l ; -- Begin function _ZN9rocsolver6v33100L23larf_right_kernel_smallILi1024EdlPKPdEEvT1_S5_T2_lS5_lPKT0_lS6_lS5_l
	.p2align	8
	.type	_ZN9rocsolver6v33100L23larf_right_kernel_smallILi1024EdlPKPdEEvT1_S5_T2_lS5_lPKT0_lS6_lS5_l,@function
_ZN9rocsolver6v33100L23larf_right_kernel_smallILi1024EdlPKPdEEvT1_S5_T2_lS5_lPKT0_lS6_lS5_l: ; @_ZN9rocsolver6v33100L23larf_right_kernel_smallILi1024EdlPKPdEEvT1_S5_T2_lS5_lPKT0_lS6_lS5_l
; %bb.0:
	s_mov_b32 s24, s3
	s_load_dwordx8 s[8:15], s[0:1], 0x0
	s_load_dwordx2 s[4:5], s[0:1], 0x20
	s_load_dwordx8 s[16:23], s[0:1], 0x30
	s_load_dwordx2 s[26:27], s[0:1], 0x50
	s_mov_b32 s3, 0
	s_lshl_b64 s[0:1], s[2:3], 3
	s_waitcnt lgkmcnt(0)
	s_add_u32 s12, s12, s0
	s_addc_u32 s13, s13, s1
	s_add_u32 s0, s20, s0
	v_cmp_gt_i64_e64 s[6:7], s[4:5], 0
	s_addc_u32 s1, s21, s1
	s_mov_b64 s[28:29], 0
	s_and_b64 vcc, exec, s[6:7]
	s_cbranch_vccnz .LBB39_2
; %bb.1:
	s_sub_u32 s3, 1, s10
	s_subb_u32 s6, 0, s11
	s_mul_i32 s6, s4, s6
	s_mul_hi_u32 s7, s4, s3
	s_add_i32 s6, s7, s6
	s_mul_i32 s7, s5, s3
	s_add_i32 s29, s6, s7
	s_mul_i32 s28, s4, s3
.LBB39_2:
	s_load_dwordx2 s[20:21], s[0:1], 0x0
	v_mov_b32_e32 v1, 0
	v_cmp_gt_i64_e64 s[0:1], s[10:11], v[0:1]
	v_lshlrev_b32_e32 v12, 3, v0
	s_and_saveexec_b64 s[6:7], s[0:1]
	s_cbranch_execz .LBB39_5
; %bb.3:
	s_load_dwordx2 s[12:13], s[12:13], 0x0
	s_lshl_b64 s[28:29], s[28:29], 3
	s_lshl_b64 s[14:15], s[14:15], 3
	v_mad_u64_u32 v[2:3], s[30:31], s4, v0, 0
	s_waitcnt lgkmcnt(0)
	s_add_u32 s3, s12, s14
	v_mov_b32_e32 v4, v3
	s_addc_u32 s13, s13, s15
	v_mad_u64_u32 v[4:5], s[30:31], s5, v0, v[4:5]
	s_add_u32 s12, s3, s28
	v_mov_b32_e32 v3, v4
	s_addc_u32 s13, s13, s29
	v_lshl_add_u64 v[2:3], v[2:3], 3, s[12:13]
	s_lshl_b64 s[4:5], s[4:5], 13
	v_lshlrev_b32_e32 v6, 3, v0
	s_mov_b64 s[12:13], 0
	s_mov_b64 s[14:15], 0x400
	v_mov_b64_e32 v[4:5], v[0:1]
.LBB39_4:                               ; =>This Inner Loop Header: Depth=1
	flat_load_dwordx2 v[8:9], v[2:3]
	v_lshl_add_u64 v[4:5], v[4:5], 0, s[14:15]
	v_cmp_le_i64_e32 vcc, s[10:11], v[4:5]
	v_lshl_add_u64 v[2:3], v[2:3], 0, s[4:5]
	s_or_b64 s[12:13], vcc, s[12:13]
	s_waitcnt vmcnt(0) lgkmcnt(0)
	ds_write_b64 v6, v[8:9]
	v_add_u32_e32 v6, 0x2000, v6
	s_andn2_b64 exec, exec, s[12:13]
	s_cbranch_execnz .LBB39_4
.LBB39_5:
	s_or_b64 exec, exec, s[6:7]
	s_mov_b32 s25, 0
	v_mov_b64_e32 v[2:3], s[24:25]
	v_cmp_le_i64_e32 vcc, s[8:9], v[2:3]
	s_waitcnt lgkmcnt(0)
	s_barrier
	s_cbranch_vccnz .LBB39_25
; %bb.6:
	s_lshl_b64 s[22:23], s[22:23], 3
	s_add_u32 s28, s20, s22
	s_mul_i32 s3, s19, s2
	s_mul_hi_u32 s4, s18, s2
	s_addc_u32 s29, s21, s23
	s_add_i32 s3, s4, s3
	s_mul_i32 s2, s18, s2
	s_lshl_b64 s[2:3], s[2:3], 3
	s_add_u32 s12, s16, s2
	v_and_b32_e32 v2, 63, v0
	s_addc_u32 s13, s17, s3
	v_cmp_eq_u32_e64 s[4:5], 0, v2
	v_mad_u64_u32 v[2:3], s[16:17], s26, v0, 0
	v_mov_b32_e32 v4, v3
	s_cmp_gt_i32 s10, 1
	v_mad_u64_u32 v[4:5], s[16:17], s27, v0, v[4:5]
	s_cselect_b64 s[14:15], -1, 0
	s_lshl_b32 s30, s26, 10
	s_lshl_b64 s[16:17], s[24:25], 3
	s_add_u32 s16, s20, s16
	s_addc_u32 s17, s21, s17
	s_add_u32 s16, s16, s22
	v_mbcnt_lo_u32_b32 v6, -1, 0
	v_mov_b32_e32 v3, v4
	s_addc_u32 s17, s17, s23
	v_mbcnt_hi_u32_b32 v23, -1, v6
	v_mov_b32_e32 v6, 0x80
	v_cmp_gt_i32_e64 s[2:3], s10, v0
	v_lshrrev_b32_e32 v13, 3, v0
	v_cmp_eq_u32_e64 s[6:7], 0, v0
	v_mul_lo_u32 v14, v0, s26
	v_lshl_add_u64 v[2:3], v[2:3], 3, s[16:17]
	s_lshl_b64 s[16:17], s[26:27], 13
	v_mov_b32_e32 v15, 0x4008
	v_mov_b32_e32 v16, 0x4018
	;; [unrolled: 1-line block ×8, first 2 shown]
	s_mov_b64 s[18:19], 0x400
	s_mov_b64 s[20:21], 0x200
	v_mov_b64_e32 v[4:5], s[8:9]
	v_and_b32_e32 v24, 63, v23
	v_lshl_or_b32 v25, v23, 2, v6
	s_branch .LBB39_8
.LBB39_7:                               ;   in Loop: Header=BB39_8 Depth=1
	s_or_b64 exec, exec, s[8:9]
	s_add_u32 s24, s24, 64
	s_addc_u32 s25, s25, 0
	v_cmp_ge_i64_e32 vcc, s[24:25], v[4:5]
	v_lshl_add_u64 v[2:3], v[2:3], 0, s[20:21]
	s_cbranch_vccnz .LBB39_25
.LBB39_8:                               ; =>This Loop Header: Depth=1
                                        ;     Child Loop BB39_10 Depth 2
                                        ;     Child Loop BB39_24 Depth 2
	v_mov_b64_e32 v[6:7], 0
	s_and_saveexec_b64 s[8:9], s[2:3]
	s_cbranch_execz .LBB39_12
; %bb.9:                                ;   in Loop: Header=BB39_8 Depth=1
	s_lshl_b64 s[22:23], s[24:25], 3
	s_add_u32 s22, s28, s22
	s_addc_u32 s23, s29, s23
	v_mov_b64_e32 v[6:7], 0
	s_mov_b64 s[26:27], 0
	v_mov_b32_e32 v8, v14
	v_mov_b32_e32 v10, v12
	;; [unrolled: 1-line block ×3, first 2 shown]
.LBB39_10:                              ;   Parent Loop BB39_8 Depth=1
                                        ; =>  This Inner Loop Header: Depth=2
	v_ashrrev_i32_e32 v9, 31, v8
	v_lshl_add_u64 v[26:27], v[8:9], 3, s[22:23]
	flat_load_dwordx2 v[26:27], v[26:27]
	ds_read_b64 v[28:29], v10
	v_add_u32_e32 v11, 0x400, v11
	v_cmp_le_i32_e32 vcc, s10, v11
	v_add_u32_e32 v10, 0x2000, v10
	v_add_u32_e32 v8, s30, v8
	s_or_b64 s[26:27], vcc, s[26:27]
	s_waitcnt vmcnt(0) lgkmcnt(0)
	v_fmac_f64_e32 v[6:7], v[28:29], v[26:27]
	s_andn2_b64 exec, exec, s[26:27]
	s_cbranch_execnz .LBB39_10
; %bb.11:                               ;   in Loop: Header=BB39_8 Depth=1
	s_or_b64 exec, exec, s[26:27]
.LBB39_12:                              ;   in Loop: Header=BB39_8 Depth=1
	s_or_b64 exec, exec, s[8:9]
	s_and_b64 vcc, exec, s[14:15]
	s_cbranch_vccz .LBB39_19
; %bb.13:                               ;   in Loop: Header=BB39_8 Depth=1
	v_cmp_ne_u32_e32 vcc, 63, v24
	s_nop 1
	v_addc_co_u32_e32 v8, vcc, 0, v23, vcc
	v_lshlrev_b32_e32 v9, 2, v8
	ds_bpermute_b32 v8, v9, v6
	ds_bpermute_b32 v9, v9, v7
	v_cmp_gt_u32_e32 vcc, 62, v24
	s_waitcnt lgkmcnt(0)
	v_add_f64 v[8:9], v[6:7], v[8:9]
	v_cndmask_b32_e64 v10, 0, 2, vcc
	v_add_lshl_u32 v11, v10, v23, 2
	ds_bpermute_b32 v10, v11, v8
	ds_bpermute_b32 v11, v11, v9
	v_cmp_gt_u32_e32 vcc, 60, v24
	s_waitcnt lgkmcnt(0)
	v_add_f64 v[8:9], v[8:9], v[10:11]
	v_cndmask_b32_e64 v10, 0, 4, vcc
	v_add_lshl_u32 v11, v10, v23, 2
	;; [unrolled: 7-line block ×4, first 2 shown]
	ds_bpermute_b32 v10, v11, v8
	ds_bpermute_b32 v11, v11, v9
	s_waitcnt lgkmcnt(0)
	v_add_f64 v[8:9], v[8:9], v[10:11]
	ds_bpermute_b32 v10, v25, v8
	ds_bpermute_b32 v11, v25, v9
	s_waitcnt lgkmcnt(0)
	v_add_f64 v[8:9], v[8:9], v[10:11]
	s_and_saveexec_b64 s[8:9], s[4:5]
; %bb.14:                               ;   in Loop: Header=BB39_8 Depth=1
	ds_write_b64 v13, v[8:9] offset:16384
; %bb.15:                               ;   in Loop: Header=BB39_8 Depth=1
	s_or_b64 exec, exec, s[8:9]
	s_mov_b64 s[22:23], 0
	s_mov_b64 s[8:9], 0
	s_waitcnt lgkmcnt(0)
	s_barrier
                                        ; implicit-def: $vgpr10_vgpr11
	s_and_saveexec_b64 s[26:27], s[6:7]
	s_xor_b64 s[26:27], exec, s[26:27]
	s_cbranch_execz .LBB39_17
; %bb.16:                               ;   in Loop: Header=BB39_8 Depth=1
	ds_read2_b64 v[26:29], v15 offset1:1
	ds_read2_b64 v[30:33], v16 offset1:1
	;; [unrolled: 1-line block ×4, first 2 shown]
	s_mov_b64 s[8:9], exec
	s_waitcnt lgkmcnt(0)
	v_add_f64 v[8:9], v[8:9], v[26:27]
	v_add_f64 v[8:9], v[8:9], v[28:29]
	s_waitcnt lgkmcnt(2)
	v_add_f64 v[8:9], v[8:9], v[30:31]
	v_add_f64 v[8:9], v[8:9], v[32:33]
	s_waitcnt lgkmcnt(1)
	v_add_f64 v[26:27], v[8:9], v[34:35]
	ds_read2_b64 v[8:11], v19 offset1:1
	v_add_f64 v[26:27], v[26:27], v[36:37]
	s_waitcnt lgkmcnt(1)
	v_add_f64 v[26:27], v[26:27], v[38:39]
	v_add_f64 v[30:31], v[26:27], v[40:41]
	ds_read2_b64 v[26:29], v20 offset1:1
	s_waitcnt lgkmcnt(0)
	v_add_f64 v[8:9], v[30:31], v[8:9]
	ds_read2_b64 v[30:33], v21 offset1:1
	v_add_f64 v[8:9], v[8:9], v[10:11]
	ds_read_b64 v[10:11], v22 offset:16504
	s_waitcnt lgkmcnt(2)
	v_add_f64 v[8:9], v[8:9], v[26:27]
	v_add_f64 v[8:9], v[8:9], v[28:29]
	s_waitcnt lgkmcnt(0)
	v_add_f64 v[8:9], v[8:9], v[30:31]
	v_add_f64 v[8:9], v[8:9], v[32:33]
	s_waitcnt lgkmcnt(0)
	v_add_f64 v[10:11], v[8:9], v[10:11]
.LBB39_17:                              ;   in Loop: Header=BB39_8 Depth=1
	s_or_b64 exec, exec, s[26:27]
	s_and_b64 vcc, exec, s[22:23]
	s_cbranch_vccnz .LBB39_20
.LBB39_18:                              ;   in Loop: Header=BB39_8 Depth=1
	v_mov_b64_e32 v[6:7], v[10:11]
	s_and_saveexec_b64 s[22:23], s[8:9]
	s_cbranch_execnz .LBB39_21
	s_branch .LBB39_22
.LBB39_19:                              ;   in Loop: Header=BB39_8 Depth=1
	s_mov_b64 s[8:9], 0
                                        ; implicit-def: $vgpr10_vgpr11
	s_cbranch_execz .LBB39_18
.LBB39_20:                              ;   in Loop: Header=BB39_8 Depth=1
	s_andn2_b64 s[8:9], s[8:9], exec
	s_and_b64 s[22:23], s[6:7], exec
	s_or_b64 s[8:9], s[8:9], s[22:23]
	s_and_saveexec_b64 s[22:23], s[8:9]
.LBB39_21:                              ;   in Loop: Header=BB39_8 Depth=1
	ds_write_b64 v22, v[6:7] offset:16384
.LBB39_22:                              ;   in Loop: Header=BB39_8 Depth=1
	s_or_b64 exec, exec, s[22:23]
	s_waitcnt lgkmcnt(0)
	s_barrier
	s_and_saveexec_b64 s[8:9], s[0:1]
	s_cbranch_execz .LBB39_7
; %bb.23:                               ;   in Loop: Header=BB39_8 Depth=1
	global_load_dwordx2 v[8:9], v22, s[12:13]
	ds_read_b64 v[10:11], v22 offset:16384
	s_mov_b64 s[22:23], 0
	v_mov_b32_e32 v26, v12
	v_mov_b64_e32 v[6:7], v[2:3]
	s_waitcnt vmcnt(0) lgkmcnt(0)
	v_mul_f64 v[8:9], v[10:11], -v[8:9]
	v_mov_b64_e32 v[10:11], v[0:1]
.LBB39_24:                              ;   Parent Loop BB39_8 Depth=1
                                        ; =>  This Inner Loop Header: Depth=2
	flat_load_dwordx2 v[28:29], v[6:7]
	ds_read_b64 v[30:31], v26
	v_lshl_add_u64 v[10:11], v[10:11], 0, s[18:19]
	v_cmp_le_i64_e32 vcc, s[10:11], v[10:11]
	s_or_b64 s[22:23], vcc, s[22:23]
	v_add_u32_e32 v26, 0x2000, v26
	s_waitcnt vmcnt(0) lgkmcnt(0)
	v_fmac_f64_e32 v[28:29], v[8:9], v[30:31]
	flat_store_dwordx2 v[6:7], v[28:29]
	v_lshl_add_u64 v[6:7], v[6:7], 0, s[16:17]
	s_andn2_b64 exec, exec, s[22:23]
	s_cbranch_execnz .LBB39_24
	s_branch .LBB39_7
.LBB39_25:
	s_endpgm
	.section	.rodata,"a",@progbits
	.p2align	6, 0x0
	.amdhsa_kernel _ZN9rocsolver6v33100L23larf_right_kernel_smallILi1024EdlPKPdEEvT1_S5_T2_lS5_lPKT0_lS6_lS5_l
		.amdhsa_group_segment_fixed_size 16512
		.amdhsa_private_segment_fixed_size 0
		.amdhsa_kernarg_size 96
		.amdhsa_user_sgpr_count 2
		.amdhsa_user_sgpr_dispatch_ptr 0
		.amdhsa_user_sgpr_queue_ptr 0
		.amdhsa_user_sgpr_kernarg_segment_ptr 1
		.amdhsa_user_sgpr_dispatch_id 0
		.amdhsa_user_sgpr_kernarg_preload_length 0
		.amdhsa_user_sgpr_kernarg_preload_offset 0
		.amdhsa_user_sgpr_private_segment_size 0
		.amdhsa_uses_dynamic_stack 0
		.amdhsa_enable_private_segment 0
		.amdhsa_system_sgpr_workgroup_id_x 1
		.amdhsa_system_sgpr_workgroup_id_y 1
		.amdhsa_system_sgpr_workgroup_id_z 0
		.amdhsa_system_sgpr_workgroup_info 0
		.amdhsa_system_vgpr_workitem_id 0
		.amdhsa_next_free_vgpr 42
		.amdhsa_next_free_sgpr 32
		.amdhsa_accum_offset 44
		.amdhsa_reserve_vcc 1
		.amdhsa_float_round_mode_32 0
		.amdhsa_float_round_mode_16_64 0
		.amdhsa_float_denorm_mode_32 3
		.amdhsa_float_denorm_mode_16_64 3
		.amdhsa_dx10_clamp 1
		.amdhsa_ieee_mode 1
		.amdhsa_fp16_overflow 0
		.amdhsa_tg_split 0
		.amdhsa_exception_fp_ieee_invalid_op 0
		.amdhsa_exception_fp_denorm_src 0
		.amdhsa_exception_fp_ieee_div_zero 0
		.amdhsa_exception_fp_ieee_overflow 0
		.amdhsa_exception_fp_ieee_underflow 0
		.amdhsa_exception_fp_ieee_inexact 0
		.amdhsa_exception_int_div_zero 0
	.end_amdhsa_kernel
	.section	.text._ZN9rocsolver6v33100L23larf_right_kernel_smallILi1024EdlPKPdEEvT1_S5_T2_lS5_lPKT0_lS6_lS5_l,"axG",@progbits,_ZN9rocsolver6v33100L23larf_right_kernel_smallILi1024EdlPKPdEEvT1_S5_T2_lS5_lPKT0_lS6_lS5_l,comdat
.Lfunc_end39:
	.size	_ZN9rocsolver6v33100L23larf_right_kernel_smallILi1024EdlPKPdEEvT1_S5_T2_lS5_lPKT0_lS6_lS5_l, .Lfunc_end39-_ZN9rocsolver6v33100L23larf_right_kernel_smallILi1024EdlPKPdEEvT1_S5_T2_lS5_lPKT0_lS6_lS5_l
                                        ; -- End function
	.set _ZN9rocsolver6v33100L23larf_right_kernel_smallILi1024EdlPKPdEEvT1_S5_T2_lS5_lPKT0_lS6_lS5_l.num_vgpr, 42
	.set _ZN9rocsolver6v33100L23larf_right_kernel_smallILi1024EdlPKPdEEvT1_S5_T2_lS5_lPKT0_lS6_lS5_l.num_agpr, 0
	.set _ZN9rocsolver6v33100L23larf_right_kernel_smallILi1024EdlPKPdEEvT1_S5_T2_lS5_lPKT0_lS6_lS5_l.numbered_sgpr, 32
	.set _ZN9rocsolver6v33100L23larf_right_kernel_smallILi1024EdlPKPdEEvT1_S5_T2_lS5_lPKT0_lS6_lS5_l.num_named_barrier, 0
	.set _ZN9rocsolver6v33100L23larf_right_kernel_smallILi1024EdlPKPdEEvT1_S5_T2_lS5_lPKT0_lS6_lS5_l.private_seg_size, 0
	.set _ZN9rocsolver6v33100L23larf_right_kernel_smallILi1024EdlPKPdEEvT1_S5_T2_lS5_lPKT0_lS6_lS5_l.uses_vcc, 1
	.set _ZN9rocsolver6v33100L23larf_right_kernel_smallILi1024EdlPKPdEEvT1_S5_T2_lS5_lPKT0_lS6_lS5_l.uses_flat_scratch, 0
	.set _ZN9rocsolver6v33100L23larf_right_kernel_smallILi1024EdlPKPdEEvT1_S5_T2_lS5_lPKT0_lS6_lS5_l.has_dyn_sized_stack, 0
	.set _ZN9rocsolver6v33100L23larf_right_kernel_smallILi1024EdlPKPdEEvT1_S5_T2_lS5_lPKT0_lS6_lS5_l.has_recursion, 0
	.set _ZN9rocsolver6v33100L23larf_right_kernel_smallILi1024EdlPKPdEEvT1_S5_T2_lS5_lPKT0_lS6_lS5_l.has_indirect_call, 0
	.section	.AMDGPU.csdata,"",@progbits
; Kernel info:
; codeLenInByte = 1488
; TotalNumSgprs: 38
; NumVgprs: 42
; NumAgprs: 0
; TotalNumVgprs: 42
; ScratchSize: 0
; MemoryBound: 0
; FloatMode: 240
; IeeeMode: 1
; LDSByteSize: 16512 bytes/workgroup (compile time only)
; SGPRBlocks: 4
; VGPRBlocks: 5
; NumSGPRsForWavesPerEU: 38
; NumVGPRsForWavesPerEU: 42
; AccumOffset: 44
; Occupancy: 8
; WaveLimiterHint : 1
; COMPUTE_PGM_RSRC2:SCRATCH_EN: 0
; COMPUTE_PGM_RSRC2:USER_SGPR: 2
; COMPUTE_PGM_RSRC2:TRAP_HANDLER: 0
; COMPUTE_PGM_RSRC2:TGID_X_EN: 1
; COMPUTE_PGM_RSRC2:TGID_Y_EN: 1
; COMPUTE_PGM_RSRC2:TGID_Z_EN: 0
; COMPUTE_PGM_RSRC2:TIDIG_COMP_CNT: 0
; COMPUTE_PGM_RSRC3_GFX90A:ACCUM_OFFSET: 10
; COMPUTE_PGM_RSRC3_GFX90A:TG_SPLIT: 0
	.section	.AMDGPU.gpr_maximums,"",@progbits
	.set amdgpu.max_num_vgpr, 0
	.set amdgpu.max_num_agpr, 0
	.set amdgpu.max_num_sgpr, 0
	.section	.AMDGPU.csdata,"",@progbits
	.type	__hip_cuid_aabf7b81bd402479,@object ; @__hip_cuid_aabf7b81bd402479
	.section	.bss,"aw",@nobits
	.globl	__hip_cuid_aabf7b81bd402479
__hip_cuid_aabf7b81bd402479:
	.byte	0                               ; 0x0
	.size	__hip_cuid_aabf7b81bd402479, 1

	.ident	"AMD clang version 22.0.0git (https://github.com/RadeonOpenCompute/llvm-project roc-7.2.4 26084 f58b06dce1f9c15707c5f808fd002e18c2accf7e)"
	.section	".note.GNU-stack","",@progbits
	.addrsig
	.addrsig_sym __hip_cuid_aabf7b81bd402479
	.amdgpu_metadata
---
amdhsa.kernels:
  - .agpr_count:     0
    .args:
      - .offset:         0
        .size:           4
        .value_kind:     by_value
      - .offset:         4
        .size:           4
        .value_kind:     by_value
      - .address_space:  global
        .offset:         8
        .size:           8
        .value_kind:     global_buffer
      - .offset:         16
        .size:           8
        .value_kind:     by_value
      - .offset:         24
        .size:           4
        .value_kind:     by_value
      - .offset:         32
        .size:           8
        .value_kind:     by_value
      - .address_space:  global
        .offset:         40
        .size:           8
        .value_kind:     global_buffer
      - .offset:         48
        .size:           8
        .value_kind:     by_value
      - .address_space:  global
        .offset:         56
        .size:           8
        .value_kind:     global_buffer
      - .offset:         64
        .size:           8
        .value_kind:     by_value
      - .offset:         72
        .size:           4
        .value_kind:     by_value
      - .offset:         80
        .size:           8
        .value_kind:     by_value
    .group_segment_fixed_size: 16896
    .kernarg_segment_align: 8
    .kernarg_segment_size: 88
    .language:       OpenCL C
    .language_version:
      - 2
      - 0
    .max_flat_workgroup_size: 64
    .name:           _ZN9rocsolver6v33100L22larf_left_kernel_smallILi64EdiPdEEvT1_S3_T2_lS3_lPKT0_lS4_lS3_l
    .private_segment_fixed_size: 0
    .sgpr_count:     34
    .sgpr_spill_count: 0
    .symbol:         _ZN9rocsolver6v33100L22larf_left_kernel_smallILi64EdiPdEEvT1_S3_T2_lS3_lPKT0_lS4_lS3_l.kd
    .uniform_work_group_size: 1
    .uses_dynamic_stack: false
    .vgpr_count:     22
    .vgpr_spill_count: 0
    .wavefront_size: 64
  - .agpr_count:     0
    .args:
      - .offset:         0
        .size:           4
        .value_kind:     by_value
      - .offset:         4
        .size:           4
        .value_kind:     by_value
      - .address_space:  global
        .offset:         8
        .size:           8
        .value_kind:     global_buffer
      - .offset:         16
        .size:           8
        .value_kind:     by_value
      - .offset:         24
        .size:           4
        .value_kind:     by_value
      - .offset:         32
        .size:           8
        .value_kind:     by_value
      - .address_space:  global
        .offset:         40
        .size:           8
        .value_kind:     global_buffer
      - .offset:         48
        .size:           8
        .value_kind:     by_value
      - .address_space:  global
        .offset:         56
        .size:           8
        .value_kind:     global_buffer
      - .offset:         64
        .size:           8
        .value_kind:     by_value
      - .offset:         72
        .size:           4
        .value_kind:     by_value
      - .offset:         80
        .size:           8
        .value_kind:     by_value
    .group_segment_fixed_size: 17408
    .kernarg_segment_align: 8
    .kernarg_segment_size: 88
    .language:       OpenCL C
    .language_version:
      - 2
      - 0
    .max_flat_workgroup_size: 128
    .name:           _ZN9rocsolver6v33100L22larf_left_kernel_smallILi128EdiPdEEvT1_S3_T2_lS3_lPKT0_lS4_lS3_l
    .private_segment_fixed_size: 0
    .sgpr_count:     34
    .sgpr_spill_count: 0
    .symbol:         _ZN9rocsolver6v33100L22larf_left_kernel_smallILi128EdiPdEEvT1_S3_T2_lS3_lPKT0_lS4_lS3_l.kd
    .uniform_work_group_size: 1
    .uses_dynamic_stack: false
    .vgpr_count:     22
    .vgpr_spill_count: 0
    .wavefront_size: 64
  - .agpr_count:     0
    .args:
      - .offset:         0
        .size:           4
        .value_kind:     by_value
      - .offset:         4
        .size:           4
        .value_kind:     by_value
      - .address_space:  global
        .offset:         8
        .size:           8
        .value_kind:     global_buffer
      - .offset:         16
        .size:           8
        .value_kind:     by_value
      - .offset:         24
        .size:           4
        .value_kind:     by_value
      - .offset:         32
        .size:           8
        .value_kind:     by_value
      - .address_space:  global
        .offset:         40
        .size:           8
        .value_kind:     global_buffer
      - .offset:         48
        .size:           8
        .value_kind:     by_value
      - .address_space:  global
        .offset:         56
        .size:           8
        .value_kind:     global_buffer
      - .offset:         64
        .size:           8
        .value_kind:     by_value
      - .offset:         72
        .size:           4
        .value_kind:     by_value
      - .offset:         80
        .size:           8
        .value_kind:     by_value
    .group_segment_fixed_size: 18432
    .kernarg_segment_align: 8
    .kernarg_segment_size: 88
    .language:       OpenCL C
    .language_version:
      - 2
      - 0
    .max_flat_workgroup_size: 256
    .name:           _ZN9rocsolver6v33100L22larf_left_kernel_smallILi256EdiPdEEvT1_S3_T2_lS3_lPKT0_lS4_lS3_l
    .private_segment_fixed_size: 0
    .sgpr_count:     34
    .sgpr_spill_count: 0
    .symbol:         _ZN9rocsolver6v33100L22larf_left_kernel_smallILi256EdiPdEEvT1_S3_T2_lS3_lPKT0_lS4_lS3_l.kd
    .uniform_work_group_size: 1
    .uses_dynamic_stack: false
    .vgpr_count:     22
    .vgpr_spill_count: 0
    .wavefront_size: 64
  - .agpr_count:     0
    .args:
      - .offset:         0
        .size:           4
        .value_kind:     by_value
      - .offset:         4
        .size:           4
        .value_kind:     by_value
      - .address_space:  global
        .offset:         8
        .size:           8
        .value_kind:     global_buffer
      - .offset:         16
        .size:           8
        .value_kind:     by_value
      - .offset:         24
        .size:           4
        .value_kind:     by_value
      - .offset:         32
        .size:           8
        .value_kind:     by_value
      - .address_space:  global
        .offset:         40
        .size:           8
        .value_kind:     global_buffer
      - .offset:         48
        .size:           8
        .value_kind:     by_value
      - .address_space:  global
        .offset:         56
        .size:           8
        .value_kind:     global_buffer
      - .offset:         64
        .size:           8
        .value_kind:     by_value
      - .offset:         72
        .size:           4
        .value_kind:     by_value
      - .offset:         80
        .size:           8
        .value_kind:     by_value
    .group_segment_fixed_size: 20480
    .kernarg_segment_align: 8
    .kernarg_segment_size: 88
    .language:       OpenCL C
    .language_version:
      - 2
      - 0
    .max_flat_workgroup_size: 512
    .name:           _ZN9rocsolver6v33100L22larf_left_kernel_smallILi512EdiPdEEvT1_S3_T2_lS3_lPKT0_lS4_lS3_l
    .private_segment_fixed_size: 0
    .sgpr_count:     34
    .sgpr_spill_count: 0
    .symbol:         _ZN9rocsolver6v33100L22larf_left_kernel_smallILi512EdiPdEEvT1_S3_T2_lS3_lPKT0_lS4_lS3_l.kd
    .uniform_work_group_size: 1
    .uses_dynamic_stack: false
    .vgpr_count:     32
    .vgpr_spill_count: 0
    .wavefront_size: 64
  - .agpr_count:     0
    .args:
      - .offset:         0
        .size:           4
        .value_kind:     by_value
      - .offset:         4
        .size:           4
        .value_kind:     by_value
      - .address_space:  global
        .offset:         8
        .size:           8
        .value_kind:     global_buffer
      - .offset:         16
        .size:           8
        .value_kind:     by_value
      - .offset:         24
        .size:           4
        .value_kind:     by_value
      - .offset:         32
        .size:           8
        .value_kind:     by_value
      - .address_space:  global
        .offset:         40
        .size:           8
        .value_kind:     global_buffer
      - .offset:         48
        .size:           8
        .value_kind:     by_value
      - .address_space:  global
        .offset:         56
        .size:           8
        .value_kind:     global_buffer
      - .offset:         64
        .size:           8
        .value_kind:     by_value
      - .offset:         72
        .size:           4
        .value_kind:     by_value
      - .offset:         80
        .size:           8
        .value_kind:     by_value
    .group_segment_fixed_size: 24576
    .kernarg_segment_align: 8
    .kernarg_segment_size: 88
    .language:       OpenCL C
    .language_version:
      - 2
      - 0
    .max_flat_workgroup_size: 1024
    .name:           _ZN9rocsolver6v33100L22larf_left_kernel_smallILi1024EdiPdEEvT1_S3_T2_lS3_lPKT0_lS4_lS3_l
    .private_segment_fixed_size: 0
    .sgpr_count:     34
    .sgpr_spill_count: 0
    .symbol:         _ZN9rocsolver6v33100L22larf_left_kernel_smallILi1024EdiPdEEvT1_S3_T2_lS3_lPKT0_lS4_lS3_l.kd
    .uniform_work_group_size: 1
    .uses_dynamic_stack: false
    .vgpr_count:     40
    .vgpr_spill_count: 0
    .wavefront_size: 64
  - .agpr_count:     0
    .args:
      - .offset:         0
        .size:           4
        .value_kind:     by_value
      - .offset:         4
        .size:           4
        .value_kind:     by_value
      - .address_space:  global
        .offset:         8
        .size:           8
        .value_kind:     global_buffer
      - .offset:         16
        .size:           8
        .value_kind:     by_value
      - .offset:         24
        .size:           4
        .value_kind:     by_value
      - .offset:         32
        .size:           8
        .value_kind:     by_value
      - .address_space:  global
        .offset:         40
        .size:           8
        .value_kind:     global_buffer
      - .offset:         48
        .size:           8
        .value_kind:     by_value
      - .address_space:  global
        .offset:         56
        .size:           8
        .value_kind:     global_buffer
      - .offset:         64
        .size:           8
        .value_kind:     by_value
      - .offset:         72
        .size:           4
        .value_kind:     by_value
      - .offset:         80
        .size:           8
        .value_kind:     by_value
    .group_segment_fixed_size: 16392
    .kernarg_segment_align: 8
    .kernarg_segment_size: 88
    .language:       OpenCL C
    .language_version:
      - 2
      - 0
    .max_flat_workgroup_size: 64
    .name:           _ZN9rocsolver6v33100L23larf_right_kernel_smallILi64EdiPdEEvT1_S3_T2_lS3_lPKT0_lS4_lS3_l
    .private_segment_fixed_size: 0
    .sgpr_count:     34
    .sgpr_spill_count: 0
    .symbol:         _ZN9rocsolver6v33100L23larf_right_kernel_smallILi64EdiPdEEvT1_S3_T2_lS3_lPKT0_lS4_lS3_l.kd
    .uniform_work_group_size: 1
    .uses_dynamic_stack: false
    .vgpr_count:     20
    .vgpr_spill_count: 0
    .wavefront_size: 64
  - .agpr_count:     0
    .args:
      - .offset:         0
        .size:           4
        .value_kind:     by_value
      - .offset:         4
        .size:           4
        .value_kind:     by_value
      - .address_space:  global
        .offset:         8
        .size:           8
        .value_kind:     global_buffer
      - .offset:         16
        .size:           8
        .value_kind:     by_value
      - .offset:         24
        .size:           4
        .value_kind:     by_value
      - .offset:         32
        .size:           8
        .value_kind:     by_value
      - .address_space:  global
        .offset:         40
        .size:           8
        .value_kind:     global_buffer
      - .offset:         48
        .size:           8
        .value_kind:     by_value
      - .address_space:  global
        .offset:         56
        .size:           8
        .value_kind:     global_buffer
      - .offset:         64
        .size:           8
        .value_kind:     by_value
      - .offset:         72
        .size:           4
        .value_kind:     by_value
      - .offset:         80
        .size:           8
        .value_kind:     by_value
    .group_segment_fixed_size: 16400
    .kernarg_segment_align: 8
    .kernarg_segment_size: 88
    .language:       OpenCL C
    .language_version:
      - 2
      - 0
    .max_flat_workgroup_size: 128
    .name:           _ZN9rocsolver6v33100L23larf_right_kernel_smallILi128EdiPdEEvT1_S3_T2_lS3_lPKT0_lS4_lS3_l
    .private_segment_fixed_size: 0
    .sgpr_count:     34
    .sgpr_spill_count: 0
    .symbol:         _ZN9rocsolver6v33100L23larf_right_kernel_smallILi128EdiPdEEvT1_S3_T2_lS3_lPKT0_lS4_lS3_l.kd
    .uniform_work_group_size: 1
    .uses_dynamic_stack: false
    .vgpr_count:     20
    .vgpr_spill_count: 0
    .wavefront_size: 64
  - .agpr_count:     0
    .args:
      - .offset:         0
        .size:           4
        .value_kind:     by_value
      - .offset:         4
        .size:           4
        .value_kind:     by_value
      - .address_space:  global
        .offset:         8
        .size:           8
        .value_kind:     global_buffer
      - .offset:         16
        .size:           8
        .value_kind:     by_value
      - .offset:         24
        .size:           4
        .value_kind:     by_value
      - .offset:         32
        .size:           8
        .value_kind:     by_value
      - .address_space:  global
        .offset:         40
        .size:           8
        .value_kind:     global_buffer
      - .offset:         48
        .size:           8
        .value_kind:     by_value
      - .address_space:  global
        .offset:         56
        .size:           8
        .value_kind:     global_buffer
      - .offset:         64
        .size:           8
        .value_kind:     by_value
      - .offset:         72
        .size:           4
        .value_kind:     by_value
      - .offset:         80
        .size:           8
        .value_kind:     by_value
    .group_segment_fixed_size: 16416
    .kernarg_segment_align: 8
    .kernarg_segment_size: 88
    .language:       OpenCL C
    .language_version:
      - 2
      - 0
    .max_flat_workgroup_size: 256
    .name:           _ZN9rocsolver6v33100L23larf_right_kernel_smallILi256EdiPdEEvT1_S3_T2_lS3_lPKT0_lS4_lS3_l
    .private_segment_fixed_size: 0
    .sgpr_count:     34
    .sgpr_spill_count: 0
    .symbol:         _ZN9rocsolver6v33100L23larf_right_kernel_smallILi256EdiPdEEvT1_S3_T2_lS3_lPKT0_lS4_lS3_l.kd
    .uniform_work_group_size: 1
    .uses_dynamic_stack: false
    .vgpr_count:     22
    .vgpr_spill_count: 0
    .wavefront_size: 64
  - .agpr_count:     0
    .args:
      - .offset:         0
        .size:           4
        .value_kind:     by_value
      - .offset:         4
        .size:           4
        .value_kind:     by_value
      - .address_space:  global
        .offset:         8
        .size:           8
        .value_kind:     global_buffer
      - .offset:         16
        .size:           8
        .value_kind:     by_value
      - .offset:         24
        .size:           4
        .value_kind:     by_value
      - .offset:         32
        .size:           8
        .value_kind:     by_value
      - .address_space:  global
        .offset:         40
        .size:           8
        .value_kind:     global_buffer
      - .offset:         48
        .size:           8
        .value_kind:     by_value
      - .address_space:  global
        .offset:         56
        .size:           8
        .value_kind:     global_buffer
      - .offset:         64
        .size:           8
        .value_kind:     by_value
      - .offset:         72
        .size:           4
        .value_kind:     by_value
      - .offset:         80
        .size:           8
        .value_kind:     by_value
    .group_segment_fixed_size: 16448
    .kernarg_segment_align: 8
    .kernarg_segment_size: 88
    .language:       OpenCL C
    .language_version:
      - 2
      - 0
    .max_flat_workgroup_size: 512
    .name:           _ZN9rocsolver6v33100L23larf_right_kernel_smallILi512EdiPdEEvT1_S3_T2_lS3_lPKT0_lS4_lS3_l
    .private_segment_fixed_size: 0
    .sgpr_count:     34
    .sgpr_spill_count: 0
    .symbol:         _ZN9rocsolver6v33100L23larf_right_kernel_smallILi512EdiPdEEvT1_S3_T2_lS3_lPKT0_lS4_lS3_l.kd
    .uniform_work_group_size: 1
    .uses_dynamic_stack: false
    .vgpr_count:     30
    .vgpr_spill_count: 0
    .wavefront_size: 64
  - .agpr_count:     0
    .args:
      - .offset:         0
        .size:           4
        .value_kind:     by_value
      - .offset:         4
        .size:           4
        .value_kind:     by_value
      - .address_space:  global
        .offset:         8
        .size:           8
        .value_kind:     global_buffer
      - .offset:         16
        .size:           8
        .value_kind:     by_value
      - .offset:         24
        .size:           4
        .value_kind:     by_value
      - .offset:         32
        .size:           8
        .value_kind:     by_value
      - .address_space:  global
        .offset:         40
        .size:           8
        .value_kind:     global_buffer
      - .offset:         48
        .size:           8
        .value_kind:     by_value
      - .address_space:  global
        .offset:         56
        .size:           8
        .value_kind:     global_buffer
      - .offset:         64
        .size:           8
        .value_kind:     by_value
      - .offset:         72
        .size:           4
        .value_kind:     by_value
      - .offset:         80
        .size:           8
        .value_kind:     by_value
    .group_segment_fixed_size: 16512
    .kernarg_segment_align: 8
    .kernarg_segment_size: 88
    .language:       OpenCL C
    .language_version:
      - 2
      - 0
    .max_flat_workgroup_size: 1024
    .name:           _ZN9rocsolver6v33100L23larf_right_kernel_smallILi1024EdiPdEEvT1_S3_T2_lS3_lPKT0_lS4_lS3_l
    .private_segment_fixed_size: 0
    .sgpr_count:     34
    .sgpr_spill_count: 0
    .symbol:         _ZN9rocsolver6v33100L23larf_right_kernel_smallILi1024EdiPdEEvT1_S3_T2_lS3_lPKT0_lS4_lS3_l.kd
    .uniform_work_group_size: 1
    .uses_dynamic_stack: false
    .vgpr_count:     38
    .vgpr_spill_count: 0
    .wavefront_size: 64
  - .agpr_count:     0
    .args:
      - .offset:         0
        .size:           4
        .value_kind:     by_value
      - .offset:         4
        .size:           4
        .value_kind:     by_value
      - .address_space:  global
        .offset:         8
        .size:           8
        .value_kind:     global_buffer
      - .offset:         16
        .size:           8
        .value_kind:     by_value
      - .offset:         24
        .size:           4
        .value_kind:     by_value
      - .offset:         32
        .size:           8
        .value_kind:     by_value
      - .address_space:  global
        .offset:         40
        .size:           8
        .value_kind:     global_buffer
      - .offset:         48
        .size:           8
        .value_kind:     by_value
      - .address_space:  global
        .offset:         56
        .size:           8
        .value_kind:     global_buffer
      - .offset:         64
        .size:           8
        .value_kind:     by_value
      - .offset:         72
        .size:           4
        .value_kind:     by_value
      - .offset:         80
        .size:           8
        .value_kind:     by_value
    .group_segment_fixed_size: 16896
    .kernarg_segment_align: 8
    .kernarg_segment_size: 88
    .language:       OpenCL C
    .language_version:
      - 2
      - 0
    .max_flat_workgroup_size: 64
    .name:           _ZN9rocsolver6v33100L22larf_left_kernel_smallILi64EdiPKPdEEvT1_S5_T2_lS5_lPKT0_lS6_lS5_l
    .private_segment_fixed_size: 0
    .sgpr_count:     34
    .sgpr_spill_count: 0
    .symbol:         _ZN9rocsolver6v33100L22larf_left_kernel_smallILi64EdiPKPdEEvT1_S5_T2_lS5_lPKT0_lS6_lS5_l.kd
    .uniform_work_group_size: 1
    .uses_dynamic_stack: false
    .vgpr_count:     22
    .vgpr_spill_count: 0
    .wavefront_size: 64
  - .agpr_count:     0
    .args:
      - .offset:         0
        .size:           4
        .value_kind:     by_value
      - .offset:         4
        .size:           4
        .value_kind:     by_value
      - .address_space:  global
        .offset:         8
        .size:           8
        .value_kind:     global_buffer
      - .offset:         16
        .size:           8
        .value_kind:     by_value
      - .offset:         24
        .size:           4
        .value_kind:     by_value
      - .offset:         32
        .size:           8
        .value_kind:     by_value
      - .address_space:  global
        .offset:         40
        .size:           8
        .value_kind:     global_buffer
      - .offset:         48
        .size:           8
        .value_kind:     by_value
      - .address_space:  global
        .offset:         56
        .size:           8
        .value_kind:     global_buffer
      - .offset:         64
        .size:           8
        .value_kind:     by_value
      - .offset:         72
        .size:           4
        .value_kind:     by_value
      - .offset:         80
        .size:           8
        .value_kind:     by_value
    .group_segment_fixed_size: 17408
    .kernarg_segment_align: 8
    .kernarg_segment_size: 88
    .language:       OpenCL C
    .language_version:
      - 2
      - 0
    .max_flat_workgroup_size: 128
    .name:           _ZN9rocsolver6v33100L22larf_left_kernel_smallILi128EdiPKPdEEvT1_S5_T2_lS5_lPKT0_lS6_lS5_l
    .private_segment_fixed_size: 0
    .sgpr_count:     34
    .sgpr_spill_count: 0
    .symbol:         _ZN9rocsolver6v33100L22larf_left_kernel_smallILi128EdiPKPdEEvT1_S5_T2_lS5_lPKT0_lS6_lS5_l.kd
    .uniform_work_group_size: 1
    .uses_dynamic_stack: false
    .vgpr_count:     22
    .vgpr_spill_count: 0
    .wavefront_size: 64
  - .agpr_count:     0
    .args:
      - .offset:         0
        .size:           4
        .value_kind:     by_value
      - .offset:         4
        .size:           4
        .value_kind:     by_value
      - .address_space:  global
        .offset:         8
        .size:           8
        .value_kind:     global_buffer
      - .offset:         16
        .size:           8
        .value_kind:     by_value
      - .offset:         24
        .size:           4
        .value_kind:     by_value
      - .offset:         32
        .size:           8
        .value_kind:     by_value
      - .address_space:  global
        .offset:         40
        .size:           8
        .value_kind:     global_buffer
      - .offset:         48
        .size:           8
        .value_kind:     by_value
      - .address_space:  global
        .offset:         56
        .size:           8
        .value_kind:     global_buffer
      - .offset:         64
        .size:           8
        .value_kind:     by_value
      - .offset:         72
        .size:           4
        .value_kind:     by_value
      - .offset:         80
        .size:           8
        .value_kind:     by_value
    .group_segment_fixed_size: 18432
    .kernarg_segment_align: 8
    .kernarg_segment_size: 88
    .language:       OpenCL C
    .language_version:
      - 2
      - 0
    .max_flat_workgroup_size: 256
    .name:           _ZN9rocsolver6v33100L22larf_left_kernel_smallILi256EdiPKPdEEvT1_S5_T2_lS5_lPKT0_lS6_lS5_l
    .private_segment_fixed_size: 0
    .sgpr_count:     34
    .sgpr_spill_count: 0
    .symbol:         _ZN9rocsolver6v33100L22larf_left_kernel_smallILi256EdiPKPdEEvT1_S5_T2_lS5_lPKT0_lS6_lS5_l.kd
    .uniform_work_group_size: 1
    .uses_dynamic_stack: false
    .vgpr_count:     22
    .vgpr_spill_count: 0
    .wavefront_size: 64
  - .agpr_count:     0
    .args:
      - .offset:         0
        .size:           4
        .value_kind:     by_value
      - .offset:         4
        .size:           4
        .value_kind:     by_value
      - .address_space:  global
        .offset:         8
        .size:           8
        .value_kind:     global_buffer
      - .offset:         16
        .size:           8
        .value_kind:     by_value
      - .offset:         24
        .size:           4
        .value_kind:     by_value
      - .offset:         32
        .size:           8
        .value_kind:     by_value
      - .address_space:  global
        .offset:         40
        .size:           8
        .value_kind:     global_buffer
      - .offset:         48
        .size:           8
        .value_kind:     by_value
      - .address_space:  global
        .offset:         56
        .size:           8
        .value_kind:     global_buffer
      - .offset:         64
        .size:           8
        .value_kind:     by_value
      - .offset:         72
        .size:           4
        .value_kind:     by_value
      - .offset:         80
        .size:           8
        .value_kind:     by_value
    .group_segment_fixed_size: 20480
    .kernarg_segment_align: 8
    .kernarg_segment_size: 88
    .language:       OpenCL C
    .language_version:
      - 2
      - 0
    .max_flat_workgroup_size: 512
    .name:           _ZN9rocsolver6v33100L22larf_left_kernel_smallILi512EdiPKPdEEvT1_S5_T2_lS5_lPKT0_lS6_lS5_l
    .private_segment_fixed_size: 0
    .sgpr_count:     34
    .sgpr_spill_count: 0
    .symbol:         _ZN9rocsolver6v33100L22larf_left_kernel_smallILi512EdiPKPdEEvT1_S5_T2_lS5_lPKT0_lS6_lS5_l.kd
    .uniform_work_group_size: 1
    .uses_dynamic_stack: false
    .vgpr_count:     32
    .vgpr_spill_count: 0
    .wavefront_size: 64
  - .agpr_count:     0
    .args:
      - .offset:         0
        .size:           4
        .value_kind:     by_value
      - .offset:         4
        .size:           4
        .value_kind:     by_value
      - .address_space:  global
        .offset:         8
        .size:           8
        .value_kind:     global_buffer
      - .offset:         16
        .size:           8
        .value_kind:     by_value
      - .offset:         24
        .size:           4
        .value_kind:     by_value
      - .offset:         32
        .size:           8
        .value_kind:     by_value
      - .address_space:  global
        .offset:         40
        .size:           8
        .value_kind:     global_buffer
      - .offset:         48
        .size:           8
        .value_kind:     by_value
      - .address_space:  global
        .offset:         56
        .size:           8
        .value_kind:     global_buffer
      - .offset:         64
        .size:           8
        .value_kind:     by_value
      - .offset:         72
        .size:           4
        .value_kind:     by_value
      - .offset:         80
        .size:           8
        .value_kind:     by_value
    .group_segment_fixed_size: 24576
    .kernarg_segment_align: 8
    .kernarg_segment_size: 88
    .language:       OpenCL C
    .language_version:
      - 2
      - 0
    .max_flat_workgroup_size: 1024
    .name:           _ZN9rocsolver6v33100L22larf_left_kernel_smallILi1024EdiPKPdEEvT1_S5_T2_lS5_lPKT0_lS6_lS5_l
    .private_segment_fixed_size: 0
    .sgpr_count:     34
    .sgpr_spill_count: 0
    .symbol:         _ZN9rocsolver6v33100L22larf_left_kernel_smallILi1024EdiPKPdEEvT1_S5_T2_lS5_lPKT0_lS6_lS5_l.kd
    .uniform_work_group_size: 1
    .uses_dynamic_stack: false
    .vgpr_count:     40
    .vgpr_spill_count: 0
    .wavefront_size: 64
  - .agpr_count:     0
    .args:
      - .offset:         0
        .size:           4
        .value_kind:     by_value
      - .offset:         4
        .size:           4
        .value_kind:     by_value
      - .address_space:  global
        .offset:         8
        .size:           8
        .value_kind:     global_buffer
      - .offset:         16
        .size:           8
        .value_kind:     by_value
      - .offset:         24
        .size:           4
        .value_kind:     by_value
      - .offset:         32
        .size:           8
        .value_kind:     by_value
      - .address_space:  global
        .offset:         40
        .size:           8
        .value_kind:     global_buffer
      - .offset:         48
        .size:           8
        .value_kind:     by_value
      - .address_space:  global
        .offset:         56
        .size:           8
        .value_kind:     global_buffer
      - .offset:         64
        .size:           8
        .value_kind:     by_value
      - .offset:         72
        .size:           4
        .value_kind:     by_value
      - .offset:         80
        .size:           8
        .value_kind:     by_value
    .group_segment_fixed_size: 16392
    .kernarg_segment_align: 8
    .kernarg_segment_size: 88
    .language:       OpenCL C
    .language_version:
      - 2
      - 0
    .max_flat_workgroup_size: 64
    .name:           _ZN9rocsolver6v33100L23larf_right_kernel_smallILi64EdiPKPdEEvT1_S5_T2_lS5_lPKT0_lS6_lS5_l
    .private_segment_fixed_size: 0
    .sgpr_count:     34
    .sgpr_spill_count: 0
    .symbol:         _ZN9rocsolver6v33100L23larf_right_kernel_smallILi64EdiPKPdEEvT1_S5_T2_lS5_lPKT0_lS6_lS5_l.kd
    .uniform_work_group_size: 1
    .uses_dynamic_stack: false
    .vgpr_count:     20
    .vgpr_spill_count: 0
    .wavefront_size: 64
  - .agpr_count:     0
    .args:
      - .offset:         0
        .size:           4
        .value_kind:     by_value
      - .offset:         4
        .size:           4
        .value_kind:     by_value
      - .address_space:  global
        .offset:         8
        .size:           8
        .value_kind:     global_buffer
      - .offset:         16
        .size:           8
        .value_kind:     by_value
      - .offset:         24
        .size:           4
        .value_kind:     by_value
      - .offset:         32
        .size:           8
        .value_kind:     by_value
      - .address_space:  global
        .offset:         40
        .size:           8
        .value_kind:     global_buffer
      - .offset:         48
        .size:           8
        .value_kind:     by_value
      - .address_space:  global
        .offset:         56
        .size:           8
        .value_kind:     global_buffer
      - .offset:         64
        .size:           8
        .value_kind:     by_value
      - .offset:         72
        .size:           4
        .value_kind:     by_value
      - .offset:         80
        .size:           8
        .value_kind:     by_value
    .group_segment_fixed_size: 16400
    .kernarg_segment_align: 8
    .kernarg_segment_size: 88
    .language:       OpenCL C
    .language_version:
      - 2
      - 0
    .max_flat_workgroup_size: 128
    .name:           _ZN9rocsolver6v33100L23larf_right_kernel_smallILi128EdiPKPdEEvT1_S5_T2_lS5_lPKT0_lS6_lS5_l
    .private_segment_fixed_size: 0
    .sgpr_count:     34
    .sgpr_spill_count: 0
    .symbol:         _ZN9rocsolver6v33100L23larf_right_kernel_smallILi128EdiPKPdEEvT1_S5_T2_lS5_lPKT0_lS6_lS5_l.kd
    .uniform_work_group_size: 1
    .uses_dynamic_stack: false
    .vgpr_count:     20
    .vgpr_spill_count: 0
    .wavefront_size: 64
  - .agpr_count:     0
    .args:
      - .offset:         0
        .size:           4
        .value_kind:     by_value
      - .offset:         4
        .size:           4
        .value_kind:     by_value
      - .address_space:  global
        .offset:         8
        .size:           8
        .value_kind:     global_buffer
      - .offset:         16
        .size:           8
        .value_kind:     by_value
      - .offset:         24
        .size:           4
        .value_kind:     by_value
      - .offset:         32
        .size:           8
        .value_kind:     by_value
      - .address_space:  global
        .offset:         40
        .size:           8
        .value_kind:     global_buffer
      - .offset:         48
        .size:           8
        .value_kind:     by_value
      - .address_space:  global
        .offset:         56
        .size:           8
        .value_kind:     global_buffer
      - .offset:         64
        .size:           8
        .value_kind:     by_value
      - .offset:         72
        .size:           4
        .value_kind:     by_value
      - .offset:         80
        .size:           8
        .value_kind:     by_value
    .group_segment_fixed_size: 16416
    .kernarg_segment_align: 8
    .kernarg_segment_size: 88
    .language:       OpenCL C
    .language_version:
      - 2
      - 0
    .max_flat_workgroup_size: 256
    .name:           _ZN9rocsolver6v33100L23larf_right_kernel_smallILi256EdiPKPdEEvT1_S5_T2_lS5_lPKT0_lS6_lS5_l
    .private_segment_fixed_size: 0
    .sgpr_count:     34
    .sgpr_spill_count: 0
    .symbol:         _ZN9rocsolver6v33100L23larf_right_kernel_smallILi256EdiPKPdEEvT1_S5_T2_lS5_lPKT0_lS6_lS5_l.kd
    .uniform_work_group_size: 1
    .uses_dynamic_stack: false
    .vgpr_count:     22
    .vgpr_spill_count: 0
    .wavefront_size: 64
  - .agpr_count:     0
    .args:
      - .offset:         0
        .size:           4
        .value_kind:     by_value
      - .offset:         4
        .size:           4
        .value_kind:     by_value
      - .address_space:  global
        .offset:         8
        .size:           8
        .value_kind:     global_buffer
      - .offset:         16
        .size:           8
        .value_kind:     by_value
      - .offset:         24
        .size:           4
        .value_kind:     by_value
      - .offset:         32
        .size:           8
        .value_kind:     by_value
      - .address_space:  global
        .offset:         40
        .size:           8
        .value_kind:     global_buffer
      - .offset:         48
        .size:           8
        .value_kind:     by_value
      - .address_space:  global
        .offset:         56
        .size:           8
        .value_kind:     global_buffer
      - .offset:         64
        .size:           8
        .value_kind:     by_value
      - .offset:         72
        .size:           4
        .value_kind:     by_value
      - .offset:         80
        .size:           8
        .value_kind:     by_value
    .group_segment_fixed_size: 16448
    .kernarg_segment_align: 8
    .kernarg_segment_size: 88
    .language:       OpenCL C
    .language_version:
      - 2
      - 0
    .max_flat_workgroup_size: 512
    .name:           _ZN9rocsolver6v33100L23larf_right_kernel_smallILi512EdiPKPdEEvT1_S5_T2_lS5_lPKT0_lS6_lS5_l
    .private_segment_fixed_size: 0
    .sgpr_count:     34
    .sgpr_spill_count: 0
    .symbol:         _ZN9rocsolver6v33100L23larf_right_kernel_smallILi512EdiPKPdEEvT1_S5_T2_lS5_lPKT0_lS6_lS5_l.kd
    .uniform_work_group_size: 1
    .uses_dynamic_stack: false
    .vgpr_count:     30
    .vgpr_spill_count: 0
    .wavefront_size: 64
  - .agpr_count:     0
    .args:
      - .offset:         0
        .size:           4
        .value_kind:     by_value
      - .offset:         4
        .size:           4
        .value_kind:     by_value
      - .address_space:  global
        .offset:         8
        .size:           8
        .value_kind:     global_buffer
      - .offset:         16
        .size:           8
        .value_kind:     by_value
      - .offset:         24
        .size:           4
        .value_kind:     by_value
      - .offset:         32
        .size:           8
        .value_kind:     by_value
      - .address_space:  global
        .offset:         40
        .size:           8
        .value_kind:     global_buffer
      - .offset:         48
        .size:           8
        .value_kind:     by_value
      - .address_space:  global
        .offset:         56
        .size:           8
        .value_kind:     global_buffer
      - .offset:         64
        .size:           8
        .value_kind:     by_value
      - .offset:         72
        .size:           4
        .value_kind:     by_value
      - .offset:         80
        .size:           8
        .value_kind:     by_value
    .group_segment_fixed_size: 16512
    .kernarg_segment_align: 8
    .kernarg_segment_size: 88
    .language:       OpenCL C
    .language_version:
      - 2
      - 0
    .max_flat_workgroup_size: 1024
    .name:           _ZN9rocsolver6v33100L23larf_right_kernel_smallILi1024EdiPKPdEEvT1_S5_T2_lS5_lPKT0_lS6_lS5_l
    .private_segment_fixed_size: 0
    .sgpr_count:     34
    .sgpr_spill_count: 0
    .symbol:         _ZN9rocsolver6v33100L23larf_right_kernel_smallILi1024EdiPKPdEEvT1_S5_T2_lS5_lPKT0_lS6_lS5_l.kd
    .uniform_work_group_size: 1
    .uses_dynamic_stack: false
    .vgpr_count:     38
    .vgpr_spill_count: 0
    .wavefront_size: 64
  - .agpr_count:     0
    .args:
      - .offset:         0
        .size:           8
        .value_kind:     by_value
      - .offset:         8
        .size:           8
        .value_kind:     by_value
      - .address_space:  global
        .offset:         16
        .size:           8
        .value_kind:     global_buffer
      - .offset:         24
        .size:           8
        .value_kind:     by_value
      - .offset:         32
        .size:           8
        .value_kind:     by_value
      - .offset:         40
        .size:           8
        .value_kind:     by_value
      - .address_space:  global
        .offset:         48
        .size:           8
        .value_kind:     global_buffer
      - .offset:         56
        .size:           8
        .value_kind:     by_value
      - .address_space:  global
        .offset:         64
        .size:           8
        .value_kind:     global_buffer
      - .offset:         72
        .size:           8
        .value_kind:     by_value
      - .offset:         80
        .size:           8
        .value_kind:     by_value
      - .offset:         88
        .size:           8
        .value_kind:     by_value
    .group_segment_fixed_size: 16896
    .kernarg_segment_align: 8
    .kernarg_segment_size: 96
    .language:       OpenCL C
    .language_version:
      - 2
      - 0
    .max_flat_workgroup_size: 64
    .name:           _ZN9rocsolver6v33100L22larf_left_kernel_smallILi64EdlPdEEvT1_S3_T2_lS3_lPKT0_lS4_lS3_l
    .private_segment_fixed_size: 0
    .sgpr_count:     36
    .sgpr_spill_count: 0
    .symbol:         _ZN9rocsolver6v33100L22larf_left_kernel_smallILi64EdlPdEEvT1_S3_T2_lS3_lPKT0_lS4_lS3_l.kd
    .uniform_work_group_size: 1
    .uses_dynamic_stack: false
    .vgpr_count:     24
    .vgpr_spill_count: 0
    .wavefront_size: 64
  - .agpr_count:     0
    .args:
      - .offset:         0
        .size:           8
        .value_kind:     by_value
      - .offset:         8
        .size:           8
        .value_kind:     by_value
      - .address_space:  global
        .offset:         16
        .size:           8
        .value_kind:     global_buffer
      - .offset:         24
        .size:           8
        .value_kind:     by_value
      - .offset:         32
        .size:           8
        .value_kind:     by_value
      - .offset:         40
        .size:           8
        .value_kind:     by_value
      - .address_space:  global
        .offset:         48
        .size:           8
        .value_kind:     global_buffer
      - .offset:         56
        .size:           8
        .value_kind:     by_value
      - .address_space:  global
        .offset:         64
        .size:           8
        .value_kind:     global_buffer
      - .offset:         72
        .size:           8
        .value_kind:     by_value
      - .offset:         80
        .size:           8
        .value_kind:     by_value
      - .offset:         88
        .size:           8
        .value_kind:     by_value
    .group_segment_fixed_size: 17408
    .kernarg_segment_align: 8
    .kernarg_segment_size: 96
    .language:       OpenCL C
    .language_version:
      - 2
      - 0
    .max_flat_workgroup_size: 128
    .name:           _ZN9rocsolver6v33100L22larf_left_kernel_smallILi128EdlPdEEvT1_S3_T2_lS3_lPKT0_lS4_lS3_l
    .private_segment_fixed_size: 0
    .sgpr_count:     36
    .sgpr_spill_count: 0
    .symbol:         _ZN9rocsolver6v33100L22larf_left_kernel_smallILi128EdlPdEEvT1_S3_T2_lS3_lPKT0_lS4_lS3_l.kd
    .uniform_work_group_size: 1
    .uses_dynamic_stack: false
    .vgpr_count:     24
    .vgpr_spill_count: 0
    .wavefront_size: 64
  - .agpr_count:     0
    .args:
      - .offset:         0
        .size:           8
        .value_kind:     by_value
      - .offset:         8
        .size:           8
        .value_kind:     by_value
      - .address_space:  global
        .offset:         16
        .size:           8
        .value_kind:     global_buffer
      - .offset:         24
        .size:           8
        .value_kind:     by_value
      - .offset:         32
        .size:           8
        .value_kind:     by_value
      - .offset:         40
        .size:           8
        .value_kind:     by_value
      - .address_space:  global
        .offset:         48
        .size:           8
        .value_kind:     global_buffer
      - .offset:         56
        .size:           8
        .value_kind:     by_value
      - .address_space:  global
        .offset:         64
        .size:           8
        .value_kind:     global_buffer
      - .offset:         72
        .size:           8
        .value_kind:     by_value
      - .offset:         80
        .size:           8
        .value_kind:     by_value
      - .offset:         88
        .size:           8
        .value_kind:     by_value
    .group_segment_fixed_size: 18432
    .kernarg_segment_align: 8
    .kernarg_segment_size: 96
    .language:       OpenCL C
    .language_version:
      - 2
      - 0
    .max_flat_workgroup_size: 256
    .name:           _ZN9rocsolver6v33100L22larf_left_kernel_smallILi256EdlPdEEvT1_S3_T2_lS3_lPKT0_lS4_lS3_l
    .private_segment_fixed_size: 0
    .sgpr_count:     36
    .sgpr_spill_count: 0
    .symbol:         _ZN9rocsolver6v33100L22larf_left_kernel_smallILi256EdlPdEEvT1_S3_T2_lS3_lPKT0_lS4_lS3_l.kd
    .uniform_work_group_size: 1
    .uses_dynamic_stack: false
    .vgpr_count:     24
    .vgpr_spill_count: 0
    .wavefront_size: 64
  - .agpr_count:     0
    .args:
      - .offset:         0
        .size:           8
        .value_kind:     by_value
      - .offset:         8
        .size:           8
        .value_kind:     by_value
      - .address_space:  global
        .offset:         16
        .size:           8
        .value_kind:     global_buffer
      - .offset:         24
        .size:           8
        .value_kind:     by_value
      - .offset:         32
        .size:           8
        .value_kind:     by_value
      - .offset:         40
        .size:           8
        .value_kind:     by_value
      - .address_space:  global
        .offset:         48
        .size:           8
        .value_kind:     global_buffer
      - .offset:         56
        .size:           8
        .value_kind:     by_value
      - .address_space:  global
        .offset:         64
        .size:           8
        .value_kind:     global_buffer
      - .offset:         72
        .size:           8
        .value_kind:     by_value
      - .offset:         80
        .size:           8
        .value_kind:     by_value
      - .offset:         88
        .size:           8
        .value_kind:     by_value
    .group_segment_fixed_size: 20480
    .kernarg_segment_align: 8
    .kernarg_segment_size: 96
    .language:       OpenCL C
    .language_version:
      - 2
      - 0
    .max_flat_workgroup_size: 512
    .name:           _ZN9rocsolver6v33100L22larf_left_kernel_smallILi512EdlPdEEvT1_S3_T2_lS3_lPKT0_lS4_lS3_l
    .private_segment_fixed_size: 0
    .sgpr_count:     36
    .sgpr_spill_count: 0
    .symbol:         _ZN9rocsolver6v33100L22larf_left_kernel_smallILi512EdlPdEEvT1_S3_T2_lS3_lPKT0_lS4_lS3_l.kd
    .uniform_work_group_size: 1
    .uses_dynamic_stack: false
    .vgpr_count:     34
    .vgpr_spill_count: 0
    .wavefront_size: 64
  - .agpr_count:     0
    .args:
      - .offset:         0
        .size:           8
        .value_kind:     by_value
      - .offset:         8
        .size:           8
        .value_kind:     by_value
      - .address_space:  global
        .offset:         16
        .size:           8
        .value_kind:     global_buffer
      - .offset:         24
        .size:           8
        .value_kind:     by_value
      - .offset:         32
        .size:           8
        .value_kind:     by_value
      - .offset:         40
        .size:           8
        .value_kind:     by_value
      - .address_space:  global
        .offset:         48
        .size:           8
        .value_kind:     global_buffer
      - .offset:         56
        .size:           8
        .value_kind:     by_value
      - .address_space:  global
        .offset:         64
        .size:           8
        .value_kind:     global_buffer
      - .offset:         72
        .size:           8
        .value_kind:     by_value
      - .offset:         80
        .size:           8
        .value_kind:     by_value
      - .offset:         88
        .size:           8
        .value_kind:     by_value
    .group_segment_fixed_size: 24576
    .kernarg_segment_align: 8
    .kernarg_segment_size: 96
    .language:       OpenCL C
    .language_version:
      - 2
      - 0
    .max_flat_workgroup_size: 1024
    .name:           _ZN9rocsolver6v33100L22larf_left_kernel_smallILi1024EdlPdEEvT1_S3_T2_lS3_lPKT0_lS4_lS3_l
    .private_segment_fixed_size: 0
    .sgpr_count:     36
    .sgpr_spill_count: 0
    .symbol:         _ZN9rocsolver6v33100L22larf_left_kernel_smallILi1024EdlPdEEvT1_S3_T2_lS3_lPKT0_lS4_lS3_l.kd
    .uniform_work_group_size: 1
    .uses_dynamic_stack: false
    .vgpr_count:     42
    .vgpr_spill_count: 0
    .wavefront_size: 64
  - .agpr_count:     0
    .args:
      - .offset:         0
        .size:           8
        .value_kind:     by_value
      - .offset:         8
        .size:           8
        .value_kind:     by_value
      - .address_space:  global
        .offset:         16
        .size:           8
        .value_kind:     global_buffer
      - .offset:         24
        .size:           8
        .value_kind:     by_value
      - .offset:         32
        .size:           8
        .value_kind:     by_value
      - .offset:         40
        .size:           8
        .value_kind:     by_value
      - .address_space:  global
        .offset:         48
        .size:           8
        .value_kind:     global_buffer
      - .offset:         56
        .size:           8
        .value_kind:     by_value
      - .address_space:  global
        .offset:         64
        .size:           8
        .value_kind:     global_buffer
      - .offset:         72
        .size:           8
        .value_kind:     by_value
      - .offset:         80
        .size:           8
        .value_kind:     by_value
      - .offset:         88
        .size:           8
        .value_kind:     by_value
    .group_segment_fixed_size: 16392
    .kernarg_segment_align: 8
    .kernarg_segment_size: 96
    .language:       OpenCL C
    .language_version:
      - 2
      - 0
    .max_flat_workgroup_size: 64
    .name:           _ZN9rocsolver6v33100L23larf_right_kernel_smallILi64EdlPdEEvT1_S3_T2_lS3_lPKT0_lS4_lS3_l
    .private_segment_fixed_size: 0
    .sgpr_count:     38
    .sgpr_spill_count: 0
    .symbol:         _ZN9rocsolver6v33100L23larf_right_kernel_smallILi64EdlPdEEvT1_S3_T2_lS3_lPKT0_lS4_lS3_l.kd
    .uniform_work_group_size: 1
    .uses_dynamic_stack: false
    .vgpr_count:     24
    .vgpr_spill_count: 0
    .wavefront_size: 64
  - .agpr_count:     0
    .args:
      - .offset:         0
        .size:           8
        .value_kind:     by_value
      - .offset:         8
        .size:           8
        .value_kind:     by_value
      - .address_space:  global
        .offset:         16
        .size:           8
        .value_kind:     global_buffer
      - .offset:         24
        .size:           8
        .value_kind:     by_value
      - .offset:         32
        .size:           8
        .value_kind:     by_value
      - .offset:         40
        .size:           8
        .value_kind:     by_value
      - .address_space:  global
        .offset:         48
        .size:           8
        .value_kind:     global_buffer
      - .offset:         56
        .size:           8
        .value_kind:     by_value
      - .address_space:  global
        .offset:         64
        .size:           8
        .value_kind:     global_buffer
      - .offset:         72
        .size:           8
        .value_kind:     by_value
      - .offset:         80
        .size:           8
        .value_kind:     by_value
      - .offset:         88
        .size:           8
        .value_kind:     by_value
    .group_segment_fixed_size: 16400
    .kernarg_segment_align: 8
    .kernarg_segment_size: 96
    .language:       OpenCL C
    .language_version:
      - 2
      - 0
    .max_flat_workgroup_size: 128
    .name:           _ZN9rocsolver6v33100L23larf_right_kernel_smallILi128EdlPdEEvT1_S3_T2_lS3_lPKT0_lS4_lS3_l
    .private_segment_fixed_size: 0
    .sgpr_count:     42
    .sgpr_spill_count: 0
    .symbol:         _ZN9rocsolver6v33100L23larf_right_kernel_smallILi128EdlPdEEvT1_S3_T2_lS3_lPKT0_lS4_lS3_l.kd
    .uniform_work_group_size: 1
    .uses_dynamic_stack: false
    .vgpr_count:     24
    .vgpr_spill_count: 0
    .wavefront_size: 64
  - .agpr_count:     0
    .args:
      - .offset:         0
        .size:           8
        .value_kind:     by_value
      - .offset:         8
        .size:           8
        .value_kind:     by_value
      - .address_space:  global
        .offset:         16
        .size:           8
        .value_kind:     global_buffer
      - .offset:         24
        .size:           8
        .value_kind:     by_value
      - .offset:         32
        .size:           8
        .value_kind:     by_value
      - .offset:         40
        .size:           8
        .value_kind:     by_value
      - .address_space:  global
        .offset:         48
        .size:           8
        .value_kind:     global_buffer
      - .offset:         56
        .size:           8
        .value_kind:     by_value
      - .address_space:  global
        .offset:         64
        .size:           8
        .value_kind:     global_buffer
      - .offset:         72
        .size:           8
        .value_kind:     by_value
      - .offset:         80
        .size:           8
        .value_kind:     by_value
      - .offset:         88
        .size:           8
        .value_kind:     by_value
    .group_segment_fixed_size: 16416
    .kernarg_segment_align: 8
    .kernarg_segment_size: 96
    .language:       OpenCL C
    .language_version:
      - 2
      - 0
    .max_flat_workgroup_size: 256
    .name:           _ZN9rocsolver6v33100L23larf_right_kernel_smallILi256EdlPdEEvT1_S3_T2_lS3_lPKT0_lS4_lS3_l
    .private_segment_fixed_size: 0
    .sgpr_count:     42
    .sgpr_spill_count: 0
    .symbol:         _ZN9rocsolver6v33100L23larf_right_kernel_smallILi256EdlPdEEvT1_S3_T2_lS3_lPKT0_lS4_lS3_l.kd
    .uniform_work_group_size: 1
    .uses_dynamic_stack: false
    .vgpr_count:     26
    .vgpr_spill_count: 0
    .wavefront_size: 64
  - .agpr_count:     0
    .args:
      - .offset:         0
        .size:           8
        .value_kind:     by_value
      - .offset:         8
        .size:           8
        .value_kind:     by_value
      - .address_space:  global
        .offset:         16
        .size:           8
        .value_kind:     global_buffer
      - .offset:         24
        .size:           8
        .value_kind:     by_value
      - .offset:         32
        .size:           8
        .value_kind:     by_value
      - .offset:         40
        .size:           8
        .value_kind:     by_value
      - .address_space:  global
        .offset:         48
        .size:           8
        .value_kind:     global_buffer
      - .offset:         56
        .size:           8
        .value_kind:     by_value
      - .address_space:  global
        .offset:         64
        .size:           8
        .value_kind:     global_buffer
      - .offset:         72
        .size:           8
        .value_kind:     by_value
      - .offset:         80
        .size:           8
        .value_kind:     by_value
      - .offset:         88
        .size:           8
        .value_kind:     by_value
    .group_segment_fixed_size: 16448
    .kernarg_segment_align: 8
    .kernarg_segment_size: 96
    .language:       OpenCL C
    .language_version:
      - 2
      - 0
    .max_flat_workgroup_size: 512
    .name:           _ZN9rocsolver6v33100L23larf_right_kernel_smallILi512EdlPdEEvT1_S3_T2_lS3_lPKT0_lS4_lS3_l
    .private_segment_fixed_size: 0
    .sgpr_count:     38
    .sgpr_spill_count: 0
    .symbol:         _ZN9rocsolver6v33100L23larf_right_kernel_smallILi512EdlPdEEvT1_S3_T2_lS3_lPKT0_lS4_lS3_l.kd
    .uniform_work_group_size: 1
    .uses_dynamic_stack: false
    .vgpr_count:     34
    .vgpr_spill_count: 0
    .wavefront_size: 64
  - .agpr_count:     0
    .args:
      - .offset:         0
        .size:           8
        .value_kind:     by_value
      - .offset:         8
        .size:           8
        .value_kind:     by_value
      - .address_space:  global
        .offset:         16
        .size:           8
        .value_kind:     global_buffer
      - .offset:         24
        .size:           8
        .value_kind:     by_value
      - .offset:         32
        .size:           8
        .value_kind:     by_value
      - .offset:         40
        .size:           8
        .value_kind:     by_value
      - .address_space:  global
        .offset:         48
        .size:           8
        .value_kind:     global_buffer
      - .offset:         56
        .size:           8
        .value_kind:     by_value
      - .address_space:  global
        .offset:         64
        .size:           8
        .value_kind:     global_buffer
      - .offset:         72
        .size:           8
        .value_kind:     by_value
      - .offset:         80
        .size:           8
        .value_kind:     by_value
      - .offset:         88
        .size:           8
        .value_kind:     by_value
    .group_segment_fixed_size: 16512
    .kernarg_segment_align: 8
    .kernarg_segment_size: 96
    .language:       OpenCL C
    .language_version:
      - 2
      - 0
    .max_flat_workgroup_size: 1024
    .name:           _ZN9rocsolver6v33100L23larf_right_kernel_smallILi1024EdlPdEEvT1_S3_T2_lS3_lPKT0_lS4_lS3_l
    .private_segment_fixed_size: 0
    .sgpr_count:     42
    .sgpr_spill_count: 0
    .symbol:         _ZN9rocsolver6v33100L23larf_right_kernel_smallILi1024EdlPdEEvT1_S3_T2_lS3_lPKT0_lS4_lS3_l.kd
    .uniform_work_group_size: 1
    .uses_dynamic_stack: false
    .vgpr_count:     42
    .vgpr_spill_count: 0
    .wavefront_size: 64
  - .agpr_count:     0
    .args:
      - .offset:         0
        .size:           8
        .value_kind:     by_value
      - .offset:         8
        .size:           8
        .value_kind:     by_value
      - .address_space:  global
        .offset:         16
        .size:           8
        .value_kind:     global_buffer
      - .offset:         24
        .size:           8
        .value_kind:     by_value
      - .offset:         32
        .size:           8
        .value_kind:     by_value
      - .offset:         40
        .size:           8
        .value_kind:     by_value
      - .address_space:  global
        .offset:         48
        .size:           8
        .value_kind:     global_buffer
      - .offset:         56
        .size:           8
        .value_kind:     by_value
      - .address_space:  global
        .offset:         64
        .size:           8
        .value_kind:     global_buffer
      - .offset:         72
        .size:           8
        .value_kind:     by_value
      - .offset:         80
        .size:           8
        .value_kind:     by_value
      - .offset:         88
        .size:           8
        .value_kind:     by_value
    .group_segment_fixed_size: 16896
    .kernarg_segment_align: 8
    .kernarg_segment_size: 96
    .language:       OpenCL C
    .language_version:
      - 2
      - 0
    .max_flat_workgroup_size: 64
    .name:           _ZN9rocsolver6v33100L22larf_left_kernel_smallILi64EdlPKPdEEvT1_S5_T2_lS5_lPKT0_lS6_lS5_l
    .private_segment_fixed_size: 0
    .sgpr_count:     38
    .sgpr_spill_count: 0
    .symbol:         _ZN9rocsolver6v33100L22larf_left_kernel_smallILi64EdlPKPdEEvT1_S5_T2_lS5_lPKT0_lS6_lS5_l.kd
    .uniform_work_group_size: 1
    .uses_dynamic_stack: false
    .vgpr_count:     24
    .vgpr_spill_count: 0
    .wavefront_size: 64
  - .agpr_count:     0
    .args:
      - .offset:         0
        .size:           8
        .value_kind:     by_value
      - .offset:         8
        .size:           8
        .value_kind:     by_value
      - .address_space:  global
        .offset:         16
        .size:           8
        .value_kind:     global_buffer
      - .offset:         24
        .size:           8
        .value_kind:     by_value
      - .offset:         32
        .size:           8
        .value_kind:     by_value
      - .offset:         40
        .size:           8
        .value_kind:     by_value
      - .address_space:  global
        .offset:         48
        .size:           8
        .value_kind:     global_buffer
      - .offset:         56
        .size:           8
        .value_kind:     by_value
      - .address_space:  global
        .offset:         64
        .size:           8
        .value_kind:     global_buffer
      - .offset:         72
        .size:           8
        .value_kind:     by_value
      - .offset:         80
        .size:           8
        .value_kind:     by_value
      - .offset:         88
        .size:           8
        .value_kind:     by_value
    .group_segment_fixed_size: 17408
    .kernarg_segment_align: 8
    .kernarg_segment_size: 96
    .language:       OpenCL C
    .language_version:
      - 2
      - 0
    .max_flat_workgroup_size: 128
    .name:           _ZN9rocsolver6v33100L22larf_left_kernel_smallILi128EdlPKPdEEvT1_S5_T2_lS5_lPKT0_lS6_lS5_l
    .private_segment_fixed_size: 0
    .sgpr_count:     38
    .sgpr_spill_count: 0
    .symbol:         _ZN9rocsolver6v33100L22larf_left_kernel_smallILi128EdlPKPdEEvT1_S5_T2_lS5_lPKT0_lS6_lS5_l.kd
    .uniform_work_group_size: 1
    .uses_dynamic_stack: false
    .vgpr_count:     24
    .vgpr_spill_count: 0
    .wavefront_size: 64
  - .agpr_count:     0
    .args:
      - .offset:         0
        .size:           8
        .value_kind:     by_value
      - .offset:         8
        .size:           8
        .value_kind:     by_value
      - .address_space:  global
        .offset:         16
        .size:           8
        .value_kind:     global_buffer
      - .offset:         24
        .size:           8
        .value_kind:     by_value
      - .offset:         32
        .size:           8
        .value_kind:     by_value
      - .offset:         40
        .size:           8
        .value_kind:     by_value
      - .address_space:  global
        .offset:         48
        .size:           8
        .value_kind:     global_buffer
      - .offset:         56
        .size:           8
        .value_kind:     by_value
      - .address_space:  global
        .offset:         64
        .size:           8
        .value_kind:     global_buffer
      - .offset:         72
        .size:           8
        .value_kind:     by_value
      - .offset:         80
        .size:           8
        .value_kind:     by_value
      - .offset:         88
        .size:           8
        .value_kind:     by_value
    .group_segment_fixed_size: 18432
    .kernarg_segment_align: 8
    .kernarg_segment_size: 96
    .language:       OpenCL C
    .language_version:
      - 2
      - 0
    .max_flat_workgroup_size: 256
    .name:           _ZN9rocsolver6v33100L22larf_left_kernel_smallILi256EdlPKPdEEvT1_S5_T2_lS5_lPKT0_lS6_lS5_l
    .private_segment_fixed_size: 0
    .sgpr_count:     38
    .sgpr_spill_count: 0
    .symbol:         _ZN9rocsolver6v33100L22larf_left_kernel_smallILi256EdlPKPdEEvT1_S5_T2_lS5_lPKT0_lS6_lS5_l.kd
    .uniform_work_group_size: 1
    .uses_dynamic_stack: false
    .vgpr_count:     24
    .vgpr_spill_count: 0
    .wavefront_size: 64
  - .agpr_count:     0
    .args:
      - .offset:         0
        .size:           8
        .value_kind:     by_value
      - .offset:         8
        .size:           8
        .value_kind:     by_value
      - .address_space:  global
        .offset:         16
        .size:           8
        .value_kind:     global_buffer
      - .offset:         24
        .size:           8
        .value_kind:     by_value
      - .offset:         32
        .size:           8
        .value_kind:     by_value
      - .offset:         40
        .size:           8
        .value_kind:     by_value
      - .address_space:  global
        .offset:         48
        .size:           8
        .value_kind:     global_buffer
      - .offset:         56
        .size:           8
        .value_kind:     by_value
      - .address_space:  global
        .offset:         64
        .size:           8
        .value_kind:     global_buffer
      - .offset:         72
        .size:           8
        .value_kind:     by_value
      - .offset:         80
        .size:           8
        .value_kind:     by_value
      - .offset:         88
        .size:           8
        .value_kind:     by_value
    .group_segment_fixed_size: 20480
    .kernarg_segment_align: 8
    .kernarg_segment_size: 96
    .language:       OpenCL C
    .language_version:
      - 2
      - 0
    .max_flat_workgroup_size: 512
    .name:           _ZN9rocsolver6v33100L22larf_left_kernel_smallILi512EdlPKPdEEvT1_S5_T2_lS5_lPKT0_lS6_lS5_l
    .private_segment_fixed_size: 0
    .sgpr_count:     38
    .sgpr_spill_count: 0
    .symbol:         _ZN9rocsolver6v33100L22larf_left_kernel_smallILi512EdlPKPdEEvT1_S5_T2_lS5_lPKT0_lS6_lS5_l.kd
    .uniform_work_group_size: 1
    .uses_dynamic_stack: false
    .vgpr_count:     34
    .vgpr_spill_count: 0
    .wavefront_size: 64
  - .agpr_count:     0
    .args:
      - .offset:         0
        .size:           8
        .value_kind:     by_value
      - .offset:         8
        .size:           8
        .value_kind:     by_value
      - .address_space:  global
        .offset:         16
        .size:           8
        .value_kind:     global_buffer
      - .offset:         24
        .size:           8
        .value_kind:     by_value
      - .offset:         32
        .size:           8
        .value_kind:     by_value
      - .offset:         40
        .size:           8
        .value_kind:     by_value
      - .address_space:  global
        .offset:         48
        .size:           8
        .value_kind:     global_buffer
      - .offset:         56
        .size:           8
        .value_kind:     by_value
      - .address_space:  global
        .offset:         64
        .size:           8
        .value_kind:     global_buffer
      - .offset:         72
        .size:           8
        .value_kind:     by_value
      - .offset:         80
        .size:           8
        .value_kind:     by_value
      - .offset:         88
        .size:           8
        .value_kind:     by_value
    .group_segment_fixed_size: 24576
    .kernarg_segment_align: 8
    .kernarg_segment_size: 96
    .language:       OpenCL C
    .language_version:
      - 2
      - 0
    .max_flat_workgroup_size: 1024
    .name:           _ZN9rocsolver6v33100L22larf_left_kernel_smallILi1024EdlPKPdEEvT1_S5_T2_lS5_lPKT0_lS6_lS5_l
    .private_segment_fixed_size: 0
    .sgpr_count:     38
    .sgpr_spill_count: 0
    .symbol:         _ZN9rocsolver6v33100L22larf_left_kernel_smallILi1024EdlPKPdEEvT1_S5_T2_lS5_lPKT0_lS6_lS5_l.kd
    .uniform_work_group_size: 1
    .uses_dynamic_stack: false
    .vgpr_count:     42
    .vgpr_spill_count: 0
    .wavefront_size: 64
  - .agpr_count:     0
    .args:
      - .offset:         0
        .size:           8
        .value_kind:     by_value
      - .offset:         8
        .size:           8
        .value_kind:     by_value
      - .address_space:  global
        .offset:         16
        .size:           8
        .value_kind:     global_buffer
      - .offset:         24
        .size:           8
        .value_kind:     by_value
      - .offset:         32
        .size:           8
        .value_kind:     by_value
      - .offset:         40
        .size:           8
        .value_kind:     by_value
      - .address_space:  global
        .offset:         48
        .size:           8
        .value_kind:     global_buffer
      - .offset:         56
        .size:           8
        .value_kind:     by_value
      - .address_space:  global
        .offset:         64
        .size:           8
        .value_kind:     global_buffer
      - .offset:         72
        .size:           8
        .value_kind:     by_value
      - .offset:         80
        .size:           8
        .value_kind:     by_value
      - .offset:         88
        .size:           8
        .value_kind:     by_value
    .group_segment_fixed_size: 16392
    .kernarg_segment_align: 8
    .kernarg_segment_size: 96
    .language:       OpenCL C
    .language_version:
      - 2
      - 0
    .max_flat_workgroup_size: 64
    .name:           _ZN9rocsolver6v33100L23larf_right_kernel_smallILi64EdlPKPdEEvT1_S5_T2_lS5_lPKT0_lS6_lS5_l
    .private_segment_fixed_size: 0
    .sgpr_count:     38
    .sgpr_spill_count: 0
    .symbol:         _ZN9rocsolver6v33100L23larf_right_kernel_smallILi64EdlPKPdEEvT1_S5_T2_lS5_lPKT0_lS6_lS5_l.kd
    .uniform_work_group_size: 1
    .uses_dynamic_stack: false
    .vgpr_count:     24
    .vgpr_spill_count: 0
    .wavefront_size: 64
  - .agpr_count:     0
    .args:
      - .offset:         0
        .size:           8
        .value_kind:     by_value
      - .offset:         8
        .size:           8
        .value_kind:     by_value
      - .address_space:  global
        .offset:         16
        .size:           8
        .value_kind:     global_buffer
      - .offset:         24
        .size:           8
        .value_kind:     by_value
      - .offset:         32
        .size:           8
        .value_kind:     by_value
      - .offset:         40
        .size:           8
        .value_kind:     by_value
      - .address_space:  global
        .offset:         48
        .size:           8
        .value_kind:     global_buffer
      - .offset:         56
        .size:           8
        .value_kind:     by_value
      - .address_space:  global
        .offset:         64
        .size:           8
        .value_kind:     global_buffer
      - .offset:         72
        .size:           8
        .value_kind:     by_value
      - .offset:         80
        .size:           8
        .value_kind:     by_value
      - .offset:         88
        .size:           8
        .value_kind:     by_value
    .group_segment_fixed_size: 16400
    .kernarg_segment_align: 8
    .kernarg_segment_size: 96
    .language:       OpenCL C
    .language_version:
      - 2
      - 0
    .max_flat_workgroup_size: 128
    .name:           _ZN9rocsolver6v33100L23larf_right_kernel_smallILi128EdlPKPdEEvT1_S5_T2_lS5_lPKT0_lS6_lS5_l
    .private_segment_fixed_size: 0
    .sgpr_count:     38
    .sgpr_spill_count: 0
    .symbol:         _ZN9rocsolver6v33100L23larf_right_kernel_smallILi128EdlPKPdEEvT1_S5_T2_lS5_lPKT0_lS6_lS5_l.kd
    .uniform_work_group_size: 1
    .uses_dynamic_stack: false
    .vgpr_count:     24
    .vgpr_spill_count: 0
    .wavefront_size: 64
  - .agpr_count:     0
    .args:
      - .offset:         0
        .size:           8
        .value_kind:     by_value
      - .offset:         8
        .size:           8
        .value_kind:     by_value
      - .address_space:  global
        .offset:         16
        .size:           8
        .value_kind:     global_buffer
      - .offset:         24
        .size:           8
        .value_kind:     by_value
      - .offset:         32
        .size:           8
        .value_kind:     by_value
      - .offset:         40
        .size:           8
        .value_kind:     by_value
      - .address_space:  global
        .offset:         48
        .size:           8
        .value_kind:     global_buffer
      - .offset:         56
        .size:           8
        .value_kind:     by_value
      - .address_space:  global
        .offset:         64
        .size:           8
        .value_kind:     global_buffer
      - .offset:         72
        .size:           8
        .value_kind:     by_value
      - .offset:         80
        .size:           8
        .value_kind:     by_value
      - .offset:         88
        .size:           8
        .value_kind:     by_value
    .group_segment_fixed_size: 16416
    .kernarg_segment_align: 8
    .kernarg_segment_size: 96
    .language:       OpenCL C
    .language_version:
      - 2
      - 0
    .max_flat_workgroup_size: 256
    .name:           _ZN9rocsolver6v33100L23larf_right_kernel_smallILi256EdlPKPdEEvT1_S5_T2_lS5_lPKT0_lS6_lS5_l
    .private_segment_fixed_size: 0
    .sgpr_count:     38
    .sgpr_spill_count: 0
    .symbol:         _ZN9rocsolver6v33100L23larf_right_kernel_smallILi256EdlPKPdEEvT1_S5_T2_lS5_lPKT0_lS6_lS5_l.kd
    .uniform_work_group_size: 1
    .uses_dynamic_stack: false
    .vgpr_count:     26
    .vgpr_spill_count: 0
    .wavefront_size: 64
  - .agpr_count:     0
    .args:
      - .offset:         0
        .size:           8
        .value_kind:     by_value
      - .offset:         8
        .size:           8
        .value_kind:     by_value
      - .address_space:  global
        .offset:         16
        .size:           8
        .value_kind:     global_buffer
      - .offset:         24
        .size:           8
        .value_kind:     by_value
      - .offset:         32
        .size:           8
        .value_kind:     by_value
      - .offset:         40
        .size:           8
        .value_kind:     by_value
      - .address_space:  global
        .offset:         48
        .size:           8
        .value_kind:     global_buffer
      - .offset:         56
        .size:           8
        .value_kind:     by_value
      - .address_space:  global
        .offset:         64
        .size:           8
        .value_kind:     global_buffer
      - .offset:         72
        .size:           8
        .value_kind:     by_value
      - .offset:         80
        .size:           8
        .value_kind:     by_value
      - .offset:         88
        .size:           8
        .value_kind:     by_value
    .group_segment_fixed_size: 16448
    .kernarg_segment_align: 8
    .kernarg_segment_size: 96
    .language:       OpenCL C
    .language_version:
      - 2
      - 0
    .max_flat_workgroup_size: 512
    .name:           _ZN9rocsolver6v33100L23larf_right_kernel_smallILi512EdlPKPdEEvT1_S5_T2_lS5_lPKT0_lS6_lS5_l
    .private_segment_fixed_size: 0
    .sgpr_count:     38
    .sgpr_spill_count: 0
    .symbol:         _ZN9rocsolver6v33100L23larf_right_kernel_smallILi512EdlPKPdEEvT1_S5_T2_lS5_lPKT0_lS6_lS5_l.kd
    .uniform_work_group_size: 1
    .uses_dynamic_stack: false
    .vgpr_count:     34
    .vgpr_spill_count: 0
    .wavefront_size: 64
  - .agpr_count:     0
    .args:
      - .offset:         0
        .size:           8
        .value_kind:     by_value
      - .offset:         8
        .size:           8
        .value_kind:     by_value
      - .address_space:  global
        .offset:         16
        .size:           8
        .value_kind:     global_buffer
      - .offset:         24
        .size:           8
        .value_kind:     by_value
      - .offset:         32
        .size:           8
        .value_kind:     by_value
      - .offset:         40
        .size:           8
        .value_kind:     by_value
      - .address_space:  global
        .offset:         48
        .size:           8
        .value_kind:     global_buffer
      - .offset:         56
        .size:           8
        .value_kind:     by_value
      - .address_space:  global
        .offset:         64
        .size:           8
        .value_kind:     global_buffer
      - .offset:         72
        .size:           8
        .value_kind:     by_value
      - .offset:         80
        .size:           8
        .value_kind:     by_value
      - .offset:         88
        .size:           8
        .value_kind:     by_value
    .group_segment_fixed_size: 16512
    .kernarg_segment_align: 8
    .kernarg_segment_size: 96
    .language:       OpenCL C
    .language_version:
      - 2
      - 0
    .max_flat_workgroup_size: 1024
    .name:           _ZN9rocsolver6v33100L23larf_right_kernel_smallILi1024EdlPKPdEEvT1_S5_T2_lS5_lPKT0_lS6_lS5_l
    .private_segment_fixed_size: 0
    .sgpr_count:     38
    .sgpr_spill_count: 0
    .symbol:         _ZN9rocsolver6v33100L23larf_right_kernel_smallILi1024EdlPKPdEEvT1_S5_T2_lS5_lPKT0_lS6_lS5_l.kd
    .uniform_work_group_size: 1
    .uses_dynamic_stack: false
    .vgpr_count:     42
    .vgpr_spill_count: 0
    .wavefront_size: 64
amdhsa.target:   amdgcn-amd-amdhsa--gfx950
amdhsa.version:
  - 1
  - 2
...

	.end_amdgpu_metadata
